;; amdgpu-corpus repo=ROCm/hipCUB kind=compiled arch=gfx906 opt=O3
	.amdgcn_target "amdgcn-amd-amdhsa--gfx906"
	.amdhsa_code_object_version 6
	.section	.text._Z16histogram_kernelILj1024ELj1ELj1024ELN6hipcub23BlockHistogramAlgorithmE1EtEvPT3_S3_,"axG",@progbits,_Z16histogram_kernelILj1024ELj1ELj1024ELN6hipcub23BlockHistogramAlgorithmE1EtEvPT3_S3_,comdat
	.protected	_Z16histogram_kernelILj1024ELj1ELj1024ELN6hipcub23BlockHistogramAlgorithmE1EtEvPT3_S3_ ; -- Begin function _Z16histogram_kernelILj1024ELj1ELj1024ELN6hipcub23BlockHistogramAlgorithmE1EtEvPT3_S3_
	.globl	_Z16histogram_kernelILj1024ELj1ELj1024ELN6hipcub23BlockHistogramAlgorithmE1EtEvPT3_S3_
	.p2align	8
	.type	_Z16histogram_kernelILj1024ELj1ELj1024ELN6hipcub23BlockHistogramAlgorithmE1EtEvPT3_S3_,@function
_Z16histogram_kernelILj1024ELj1ELj1024ELN6hipcub23BlockHistogramAlgorithmE1EtEvPT3_S3_: ; @_Z16histogram_kernelILj1024ELj1ELj1024ELN6hipcub23BlockHistogramAlgorithmE1EtEvPT3_S3_
; %bb.0:
	s_load_dwordx4 s[24:27], s[4:5], 0x0
	s_load_dword s7, s[4:5], 0x1c
	v_lshl_or_b32 v3, s6, 10, v0
	v_mov_b32_e32 v4, 0
	v_lshlrev_b64 v[5:6], 1, v[3:4]
	s_waitcnt lgkmcnt(0)
	v_mov_b32_e32 v3, s25
	v_add_co_u32_e32 v7, vcc, s24, v5
	v_addc_co_u32_e32 v8, vcc, v3, v6, vcc
	global_load_ushort v8, v[7:8], off
	s_mov_b32 s0, 0
	s_mov_b32 s1, s0
	v_mov_b32_e32 v14, s1
	s_mov_b32 s2, s0
	s_mov_b32 s3, s0
	v_mov_b32_e32 v13, s0
	s_lshr_b32 s0, s7, 16
	s_and_b32 s1, s7, 0xffff
	v_mad_u32_u24 v1, v2, s0, v1
	v_mad_u64_u32 v[1:2], s[0:1], v1, s1, v[0:1]
	v_mov_b32_e32 v17, s3
	v_mov_b32_e32 v7, 4
	v_lshlrev_b32_e32 v9, 1, v0
	v_lshlrev_b32_e32 v10, 4, v0
	v_mov_b32_e32 v16, s2
	v_lshrrev_b32_e32 v1, 4, v1
	ds_write_b16 v9, v4 offset:16448
	s_waitcnt vmcnt(0) lgkmcnt(0)
	s_barrier
	ds_write2_b64 v10, v[13:14], v[16:17] offset0:8 offset1:9
	v_and_b32_e32 v14, 0xffffffc, v1
	v_mbcnt_lo_u32_b32 v3, -1, 0
	v_mbcnt_hi_u32_b32 v11, -1, v3
	v_mov_b32_e32 v12, v4
	v_mov_b32_e32 v15, v4
	;; [unrolled: 1-line block ×5, first 2 shown]
	s_waitcnt lgkmcnt(0)
	s_barrier
	; wave barrier
	v_lshlrev_b16_sdwa v1, v7, v8 dst_sel:DWORD dst_unused:UNUSED_PAD src0_sel:DWORD src1_sel:BYTE_0
	v_and_b32_e32 v2, 1, v8
	v_lshl_add_u32 v17, v1, 2, v14
	v_add_co_u32_e32 v1, vcc, -1, v2
	v_lshlrev_b32_e32 v13, 30, v8
	v_addc_co_u32_e64 v3, s[0:1], 0, -1, vcc
	v_lshlrev_b32_e32 v16, 29, v8
	v_cmp_ne_u32_e32 vcc, 0, v2
	v_cmp_gt_i64_e64 s[0:1], 0, v[12:13]
	v_not_b32_e32 v2, v13
	v_lshlrev_b32_e32 v19, 28, v8
	v_cmp_gt_i64_e64 s[2:3], 0, v[15:16]
	v_not_b32_e32 v7, v16
	v_xor_b32_e32 v3, vcc_hi, v3
	v_xor_b32_e32 v1, vcc_lo, v1
	v_ashrrev_i32_e32 v2, 31, v2
	v_lshlrev_b32_e32 v21, 27, v8
	v_cmp_gt_i64_e64 s[4:5], 0, v[18:19]
	v_not_b32_e32 v12, v19
	v_ashrrev_i32_e32 v7, 31, v7
	v_and_b32_e32 v3, exec_hi, v3
	v_and_b32_e32 v1, exec_lo, v1
	v_xor_b32_e32 v16, s1, v2
	v_xor_b32_e32 v2, s0, v2
	v_lshlrev_b32_e32 v23, 26, v8
	v_cmp_gt_i64_e64 s[6:7], 0, v[20:21]
	v_not_b32_e32 v13, v21
	v_ashrrev_i32_e32 v12, 31, v12
	v_xor_b32_e32 v18, s3, v7
	v_xor_b32_e32 v7, s2, v7
	v_and_b32_e32 v3, v3, v16
	v_and_b32_e32 v1, v1, v2
	v_cmp_gt_i64_e64 s[8:9], 0, v[22:23]
	v_not_b32_e32 v15, v23
	v_ashrrev_i32_e32 v13, 31, v13
	v_xor_b32_e32 v19, s5, v12
	v_xor_b32_e32 v12, s4, v12
	v_and_b32_e32 v2, v3, v18
	v_and_b32_e32 v1, v1, v7
	v_ashrrev_i32_e32 v15, 31, v15
	v_xor_b32_e32 v20, s7, v13
	v_xor_b32_e32 v13, s6, v13
	v_and_b32_e32 v2, v2, v19
	v_and_b32_e32 v1, v1, v12
	v_xor_b32_e32 v21, s9, v15
	v_and_b32_e32 v2, v2, v20
	v_and_b32_e32 v1, v1, v13
	;; [unrolled: 3-line block ×3, first 2 shown]
	v_lshlrev_b32_e32 v2, 25, v8
	v_mov_b32_e32 v1, v4
	v_cmp_gt_i64_e32 vcc, 0, v[1:2]
	v_not_b32_e32 v1, v2
	v_ashrrev_i32_e32 v1, 31, v1
	v_xor_b32_e32 v2, vcc_hi, v1
	v_xor_b32_e32 v1, vcc_lo, v1
	v_and_b32_e32 v7, v7, v2
	v_and_b32_e32 v3, v3, v1
	v_lshlrev_b32_e32 v2, 24, v8
	v_mov_b32_e32 v1, v4
	v_cmp_gt_i64_e32 vcc, 0, v[1:2]
	v_not_b32_e32 v1, v2
	v_ashrrev_i32_e32 v1, 31, v1
	v_xor_b32_e32 v2, vcc_hi, v1
	v_xor_b32_e32 v1, vcc_lo, v1
	v_and_b32_e32 v1, v3, v1
	v_and_b32_e32 v2, v7, v2
	v_mbcnt_lo_u32_b32 v3, v1, 0
	v_mbcnt_hi_u32_b32 v18, v2, v3
	v_cmp_ne_u64_e32 vcc, 0, v[1:2]
	v_cmp_eq_u32_e64 s[0:1], 0, v18
	s_and_b64 s[2:3], vcc, s[0:1]
	s_and_saveexec_b64 s[0:1], s[2:3]
; %bb.1:
	v_bcnt_u32_b32 v1, v1, 0
	v_bcnt_u32_b32 v1, v2, v1
	ds_write_b32 v17, v1 offset:64
; %bb.2:
	s_or_b64 exec, exec, s[0:1]
	v_and_b32_e32 v1, 16, v11
	v_cmp_eq_u32_e64 s[8:9], 0, v1
	; wave barrier
	s_waitcnt lgkmcnt(0)
	s_barrier
	ds_read2_b64 v[1:4], v10 offset0:8 offset1:9
	v_and_b32_e32 v13, 15, v11
	v_cmp_eq_u32_e64 s[0:1], 0, v13
	v_cmp_lt_u32_e64 s[2:3], 1, v13
	v_cmp_lt_u32_e64 s[4:5], 3, v13
	s_waitcnt lgkmcnt(0)
	v_add_u32_e32 v16, v2, v1
	v_add3_u32 v4, v16, v3, v4
	v_cmp_lt_u32_e64 s[6:7], 7, v13
	v_bfe_i32 v15, v11, 4, 1
	v_mov_b32_dpp v16, v4 row_shr:1 row_mask:0xf bank_mask:0xf
	v_cndmask_b32_e64 v16, v16, 0, s[0:1]
	v_add_u32_e32 v4, v16, v4
	v_and_b32_e32 v12, 63, v0
	v_cmp_lt_u32_e64 s[20:21], 31, v11
	v_mov_b32_dpp v16, v4 row_shr:2 row_mask:0xf bank_mask:0xf
	v_cndmask_b32_e64 v16, 0, v16, s[2:3]
	v_add_u32_e32 v4, v4, v16
	v_cmp_eq_u32_e64 s[10:11], 63, v12
	v_lshrrev_b32_e32 v12, 4, v0
	v_mov_b32_dpp v16, v4 row_shr:4 row_mask:0xf bank_mask:0xf
	v_cndmask_b32_e64 v16, 0, v16, s[4:5]
	v_add_u32_e32 v4, v4, v16
	v_mul_i32_i24_e32 v7, -12, v0
	v_and_b32_e32 v12, 60, v12
	v_mov_b32_dpp v16, v4 row_shr:8 row_mask:0xf bank_mask:0xf
	v_cndmask_b32_e64 v13, 0, v16, s[6:7]
	v_add_u32_e32 v4, v4, v13
	s_nop 1
	v_mov_b32_dpp v13, v4 row_bcast:15 row_mask:0xf bank_mask:0xf
	v_and_b32_e32 v13, v15, v13
	v_add_u32_e32 v4, v4, v13
	s_nop 1
	v_mov_b32_dpp v13, v4 row_bcast:31 row_mask:0xf bank_mask:0xf
	v_cndmask_b32_e64 v13, 0, v13, s[20:21]
	v_add_u32_e32 v4, v4, v13
	s_and_saveexec_b64 s[12:13], s[10:11]
; %bb.3:
	ds_write_b32 v12, v4
; %bb.4:
	s_or_b64 exec, exec, s[12:13]
	v_cmp_gt_u32_e64 s[16:17], 16, v0
	v_add_u32_e32 v13, v10, v7
	s_waitcnt lgkmcnt(0)
	s_barrier
	s_and_saveexec_b64 s[12:13], s[16:17]
	s_cbranch_execz .LBB0_6
; %bb.5:
	ds_read_b32 v7, v13
	s_waitcnt lgkmcnt(0)
	s_nop 0
	v_mov_b32_dpp v15, v7 row_shr:1 row_mask:0xf bank_mask:0xf
	v_cndmask_b32_e64 v15, v15, 0, s[0:1]
	v_add_u32_e32 v7, v15, v7
	s_nop 1
	v_mov_b32_dpp v15, v7 row_shr:2 row_mask:0xf bank_mask:0xf
	v_cndmask_b32_e64 v15, 0, v15, s[2:3]
	v_add_u32_e32 v7, v7, v15
	;; [unrolled: 4-line block ×4, first 2 shown]
	ds_write_b32 v13, v7
.LBB0_6:
	s_or_b64 exec, exec, s[12:13]
	v_subrev_co_u32_e64 v16, s[14:15], 1, v11
	v_cmp_lt_u32_e64 s[18:19], 63, v0
	v_add_u32_e32 v15, -4, v12
	v_mov_b32_e32 v7, 0
	v_mov_b32_e32 v19, 0
	s_waitcnt lgkmcnt(0)
	s_barrier
	s_and_saveexec_b64 s[12:13], s[18:19]
; %bb.7:
	ds_read_b32 v19, v15
; %bb.8:
	s_or_b64 exec, exec, s[12:13]
	v_and_b32_e32 v20, 64, v11
	v_cmp_lt_i32_e32 vcc, v16, v20
	v_cndmask_b32_e32 v16, v16, v11, vcc
	v_lshlrev_b32_e32 v16, 2, v16
	s_waitcnt lgkmcnt(0)
	v_add_u32_e32 v4, v19, v4
	ds_bpermute_b32 v4, v16, v4
	v_and_b32_e32 v20, 0x3c0, v0
	v_cmp_eq_u32_e32 vcc, 0, v0
	v_lshlrev_b32_e32 v20, 1, v20
	v_lshl_add_u32 v11, v11, 1, v20
	s_waitcnt lgkmcnt(0)
	v_cndmask_b32_e64 v4, v4, v19, s[14:15]
	v_cndmask_b32_e64 v19, v4, 0, vcc
	v_add_u32_e32 v20, v19, v1
	v_add_u32_e32 v1, v20, v2
	;; [unrolled: 1-line block ×3, first 2 shown]
	ds_write2_b64 v10, v[19:20], v[1:2] offset0:8 offset1:9
	s_waitcnt lgkmcnt(0)
	s_barrier
	ds_read_b32 v1, v17 offset:64
	v_lshlrev_b32_e32 v2, 1, v18
	s_mov_b32 s22, 0
	s_waitcnt lgkmcnt(0)
	s_barrier
	v_lshl_add_u32 v1, v1, 1, v2
	ds_write_b16 v1, v8
	s_waitcnt lgkmcnt(0)
	s_barrier
	ds_read_u16 v11, v11
	s_mov_b32 s24, s22
	s_mov_b32 s23, s22
	;; [unrolled: 1-line block ×3, first 2 shown]
	v_mov_b32_e32 v1, s22
	v_mov_b32_e32 v3, s24
	;; [unrolled: 1-line block ×4, first 2 shown]
	s_waitcnt lgkmcnt(0)
	s_barrier
	ds_write2_b64 v10, v[1:2], v[3:4] offset0:8 offset1:9
	v_mov_b32_e32 v1, 4
	v_lshlrev_b16_sdwa v1, v1, v11 dst_sel:DWORD dst_unused:UNUSED_PAD src0_sel:DWORD src1_sel:BYTE_1
	v_lshl_add_u32 v14, v1, 2, v14
	v_mov_b32_e32 v1, 1
	v_and_b32_sdwa v1, v11, v1 dst_sel:DWORD dst_unused:UNUSED_PAD src0_sel:BYTE_1 src1_sel:DWORD
	v_add_co_u32_e64 v2, s[22:23], -1, v1
	v_addc_co_u32_e64 v3, s[22:23], 0, -1, s[22:23]
	v_cmp_ne_u32_e64 s[22:23], 0, v1
	v_xor_b32_e32 v1, s23, v3
	v_mov_b32_e32 v3, 30
	v_lshlrev_b32_sdwa v8, v3, v11 dst_sel:DWORD dst_unused:UNUSED_PAD src0_sel:DWORD src1_sel:BYTE_1
	v_xor_b32_e32 v2, s22, v2
	v_cmp_gt_i64_e64 s[22:23], 0, v[7:8]
	v_not_b32_e32 v3, v8
	v_ashrrev_i32_e32 v3, 31, v3
	v_and_b32_e32 v2, exec_lo, v2
	v_xor_b32_e32 v4, s23, v3
	v_xor_b32_e32 v3, s22, v3
	v_and_b32_e32 v2, v2, v3
	v_mov_b32_e32 v3, 29
	v_lshlrev_b32_sdwa v8, v3, v11 dst_sel:DWORD dst_unused:UNUSED_PAD src0_sel:DWORD src1_sel:BYTE_1
	v_cmp_gt_i64_e64 s[22:23], 0, v[7:8]
	v_not_b32_e32 v3, v8
	v_and_b32_e32 v1, exec_hi, v1
	v_ashrrev_i32_e32 v3, 31, v3
	v_and_b32_e32 v1, v1, v4
	v_xor_b32_e32 v4, s23, v3
	v_xor_b32_e32 v3, s22, v3
	v_and_b32_e32 v2, v2, v3
	v_mov_b32_e32 v3, 28
	v_lshlrev_b32_sdwa v8, v3, v11 dst_sel:DWORD dst_unused:UNUSED_PAD src0_sel:DWORD src1_sel:BYTE_1
	v_cmp_gt_i64_e64 s[22:23], 0, v[7:8]
	v_not_b32_e32 v3, v8
	v_ashrrev_i32_e32 v3, 31, v3
	v_and_b32_e32 v1, v1, v4
	v_xor_b32_e32 v4, s23, v3
	v_xor_b32_e32 v3, s22, v3
	v_and_b32_e32 v2, v2, v3
	v_mov_b32_e32 v3, 27
	v_lshlrev_b32_sdwa v8, v3, v11 dst_sel:DWORD dst_unused:UNUSED_PAD src0_sel:DWORD src1_sel:BYTE_1
	v_cmp_gt_i64_e64 s[22:23], 0, v[7:8]
	v_not_b32_e32 v3, v8
	;; [unrolled: 9-line block ×5, first 2 shown]
	v_ashrrev_i32_e32 v2, 31, v2
	v_and_b32_e32 v1, v1, v4
	v_xor_b32_e32 v4, s23, v2
	v_xor_b32_e32 v7, s22, v2
	v_and_b32_e32 v2, v1, v4
	v_and_b32_e32 v1, v3, v7
	v_mbcnt_lo_u32_b32 v3, v1, 0
	v_mbcnt_hi_u32_b32 v7, v2, v3
	v_cmp_ne_u64_e64 s[22:23], 0, v[1:2]
	v_cmp_eq_u32_e64 s[24:25], 0, v7
	v_cmp_ne_u32_e64 s[12:13], 0, v0
	s_and_b64 s[24:25], s[22:23], s[24:25]
	s_waitcnt lgkmcnt(0)
	s_barrier
	; wave barrier
	s_and_saveexec_b64 s[22:23], s[24:25]
; %bb.9:
	v_bcnt_u32_b32 v1, v1, 0
	v_bcnt_u32_b32 v1, v2, v1
	ds_write_b32 v14, v1 offset:64
; %bb.10:
	s_or_b64 exec, exec, s[22:23]
	; wave barrier
	s_waitcnt lgkmcnt(0)
	s_barrier
	ds_read2_b64 v[1:4], v10 offset0:8 offset1:9
	s_waitcnt lgkmcnt(0)
	v_add_u32_e32 v8, v2, v1
	v_add3_u32 v4, v8, v3, v4
	s_nop 1
	v_mov_b32_dpp v8, v4 row_shr:1 row_mask:0xf bank_mask:0xf
	v_cndmask_b32_e64 v8, v8, 0, s[0:1]
	v_add_u32_e32 v4, v8, v4
	s_nop 1
	v_mov_b32_dpp v8, v4 row_shr:2 row_mask:0xf bank_mask:0xf
	v_cndmask_b32_e64 v8, 0, v8, s[2:3]
	v_add_u32_e32 v4, v4, v8
	s_nop 1
	v_mov_b32_dpp v8, v4 row_shr:4 row_mask:0xf bank_mask:0xf
	v_cndmask_b32_e64 v8, 0, v8, s[4:5]
	v_add_u32_e32 v4, v4, v8
	s_nop 1
	v_mov_b32_dpp v8, v4 row_shr:8 row_mask:0xf bank_mask:0xf
	v_cndmask_b32_e64 v8, 0, v8, s[6:7]
	v_add_u32_e32 v4, v4, v8
	s_nop 1
	v_mov_b32_dpp v8, v4 row_bcast:15 row_mask:0xf bank_mask:0xf
	v_cndmask_b32_e64 v8, v8, 0, s[8:9]
	v_add_u32_e32 v4, v4, v8
	s_nop 1
	v_mov_b32_dpp v8, v4 row_bcast:31 row_mask:0xf bank_mask:0xf
	v_cndmask_b32_e64 v8, 0, v8, s[20:21]
	v_add_u32_e32 v4, v4, v8
	s_and_saveexec_b64 s[8:9], s[10:11]
; %bb.11:
	ds_write_b32 v12, v4
; %bb.12:
	s_or_b64 exec, exec, s[8:9]
	s_waitcnt lgkmcnt(0)
	s_barrier
	s_and_saveexec_b64 s[8:9], s[16:17]
	s_cbranch_execz .LBB0_14
; %bb.13:
	ds_read_b32 v8, v13
	s_waitcnt lgkmcnt(0)
	s_nop 0
	v_mov_b32_dpp v12, v8 row_shr:1 row_mask:0xf bank_mask:0xf
	v_cndmask_b32_e64 v12, v12, 0, s[0:1]
	v_add_u32_e32 v8, v12, v8
	s_nop 1
	v_mov_b32_dpp v12, v8 row_shr:2 row_mask:0xf bank_mask:0xf
	v_cndmask_b32_e64 v12, 0, v12, s[2:3]
	v_add_u32_e32 v8, v8, v12
	;; [unrolled: 4-line block ×4, first 2 shown]
	ds_write_b32 v13, v8
.LBB0_14:
	s_or_b64 exec, exec, s[8:9]
	v_mov_b32_e32 v8, 0
	s_waitcnt lgkmcnt(0)
	s_barrier
	s_and_saveexec_b64 s[0:1], s[18:19]
; %bb.15:
	ds_read_b32 v8, v15
; %bb.16:
	s_or_b64 exec, exec, s[0:1]
	s_waitcnt lgkmcnt(0)
	v_add_u32_e32 v4, v8, v4
	ds_bpermute_b32 v4, v16, v4
	s_waitcnt lgkmcnt(0)
	v_cndmask_b32_e64 v4, v4, v8, s[14:15]
	v_cndmask_b32_e64 v12, v4, 0, vcc
	v_add_u32_e32 v13, v12, v1
	v_add_u32_e32 v1, v13, v2
	;; [unrolled: 1-line block ×3, first 2 shown]
	ds_write2_b64 v10, v[12:13], v[1:2] offset0:8 offset1:9
	s_waitcnt lgkmcnt(0)
	s_barrier
	ds_read_b32 v1, v14 offset:64
	v_lshlrev_b32_e32 v2, 1, v7
	s_waitcnt lgkmcnt(0)
	s_barrier
	v_lshl_add_u32 v1, v1, 1, v2
	ds_write_b16 v1, v11
	s_waitcnt lgkmcnt(0)
	s_barrier
	ds_read_u16 v2, v9
	v_add_u32_e32 v1, v9, v9
	v_mov_b32_e32 v3, 0x400
	s_waitcnt lgkmcnt(0)
	s_barrier
	ds_write2st64_b32 v1, v3, v3 offset0:16 offset1:32
	s_waitcnt lgkmcnt(0)
	s_barrier
	ds_write_b16 v9, v2
	s_waitcnt lgkmcnt(0)
	s_barrier
	s_and_saveexec_b64 s[0:1], s[12:13]
	s_cbranch_execz .LBB0_19
; %bb.17:
	v_add_u32_e32 v3, -2, v9
	ds_read_u16 v3, v3
	s_waitcnt lgkmcnt(0)
	v_cmp_ne_u16_sdwa s[2:3], v3, v2 src0_sel:DWORD src1_sel:WORD_0
	s_and_b64 exec, exec, s[2:3]
	s_cbranch_execz .LBB0_19
; %bb.18:
	v_mov_b32_e32 v4, 2
	v_lshlrev_b32_sdwa v7, v4, v2 dst_sel:DWORD dst_unused:UNUSED_PAD src0_sel:DWORD src1_sel:WORD_0
	v_lshlrev_b32_sdwa v3, v4, v3 dst_sel:DWORD dst_unused:UNUSED_PAD src0_sel:DWORD src1_sel:WORD_0
	ds_write_b32 v7, v0 offset:4096
	ds_write_b32 v3, v0 offset:8192
.LBB0_19:
	s_or_b64 exec, exec, s[0:1]
	v_add_u32_e32 v0, 0x4040, v9
	s_waitcnt lgkmcnt(0)
	s_barrier
	s_and_saveexec_b64 s[0:1], vcc
; %bb.20:
	v_mov_b32_e32 v3, 2
	v_lshlrev_b32_sdwa v2, v3, v2 dst_sel:DWORD dst_unused:UNUSED_PAD src0_sel:DWORD src1_sel:WORD_0
	v_mov_b32_e32 v3, 0
	ds_write_b32 v2, v3 offset:4096
; %bb.21:
	s_or_b64 exec, exec, s[0:1]
	s_waitcnt lgkmcnt(0)
	s_barrier
	ds_read2st64_b32 v[1:2], v1 offset0:16 offset1:32
	ds_read_u16 v3, v0
	s_waitcnt lgkmcnt(1)
	v_sub_u32_e32 v1, v2, v1
	s_waitcnt lgkmcnt(0)
	v_add_u16_e32 v1, v3, v1
	ds_write_b16 v0, v1
	s_waitcnt lgkmcnt(0)
	s_barrier
	ds_read_u16 v2, v0
	v_mov_b32_e32 v1, s27
	v_add_co_u32_e32 v0, vcc, s26, v5
	v_addc_co_u32_e32 v1, vcc, v1, v6, vcc
	s_waitcnt lgkmcnt(0)
	global_store_short v[0:1], v2, off
	s_endpgm
	.section	.rodata,"a",@progbits
	.p2align	6, 0x0
	.amdhsa_kernel _Z16histogram_kernelILj1024ELj1ELj1024ELN6hipcub23BlockHistogramAlgorithmE1EtEvPT3_S3_
		.amdhsa_group_segment_fixed_size 18496
		.amdhsa_private_segment_fixed_size 0
		.amdhsa_kernarg_size 272
		.amdhsa_user_sgpr_count 6
		.amdhsa_user_sgpr_private_segment_buffer 1
		.amdhsa_user_sgpr_dispatch_ptr 0
		.amdhsa_user_sgpr_queue_ptr 0
		.amdhsa_user_sgpr_kernarg_segment_ptr 1
		.amdhsa_user_sgpr_dispatch_id 0
		.amdhsa_user_sgpr_flat_scratch_init 0
		.amdhsa_user_sgpr_private_segment_size 0
		.amdhsa_uses_dynamic_stack 0
		.amdhsa_system_sgpr_private_segment_wavefront_offset 0
		.amdhsa_system_sgpr_workgroup_id_x 1
		.amdhsa_system_sgpr_workgroup_id_y 0
		.amdhsa_system_sgpr_workgroup_id_z 0
		.amdhsa_system_sgpr_workgroup_info 0
		.amdhsa_system_vgpr_workitem_id 2
		.amdhsa_next_free_vgpr 29
		.amdhsa_next_free_sgpr 61
		.amdhsa_reserve_vcc 1
		.amdhsa_reserve_flat_scratch 0
		.amdhsa_float_round_mode_32 0
		.amdhsa_float_round_mode_16_64 0
		.amdhsa_float_denorm_mode_32 3
		.amdhsa_float_denorm_mode_16_64 3
		.amdhsa_dx10_clamp 1
		.amdhsa_ieee_mode 1
		.amdhsa_fp16_overflow 0
		.amdhsa_exception_fp_ieee_invalid_op 0
		.amdhsa_exception_fp_denorm_src 0
		.amdhsa_exception_fp_ieee_div_zero 0
		.amdhsa_exception_fp_ieee_overflow 0
		.amdhsa_exception_fp_ieee_underflow 0
		.amdhsa_exception_fp_ieee_inexact 0
		.amdhsa_exception_int_div_zero 0
	.end_amdhsa_kernel
	.section	.text._Z16histogram_kernelILj1024ELj1ELj1024ELN6hipcub23BlockHistogramAlgorithmE1EtEvPT3_S3_,"axG",@progbits,_Z16histogram_kernelILj1024ELj1ELj1024ELN6hipcub23BlockHistogramAlgorithmE1EtEvPT3_S3_,comdat
.Lfunc_end0:
	.size	_Z16histogram_kernelILj1024ELj1ELj1024ELN6hipcub23BlockHistogramAlgorithmE1EtEvPT3_S3_, .Lfunc_end0-_Z16histogram_kernelILj1024ELj1ELj1024ELN6hipcub23BlockHistogramAlgorithmE1EtEvPT3_S3_
                                        ; -- End function
	.set _Z16histogram_kernelILj1024ELj1ELj1024ELN6hipcub23BlockHistogramAlgorithmE1EtEvPT3_S3_.num_vgpr, 24
	.set _Z16histogram_kernelILj1024ELj1ELj1024ELN6hipcub23BlockHistogramAlgorithmE1EtEvPT3_S3_.num_agpr, 0
	.set _Z16histogram_kernelILj1024ELj1ELj1024ELN6hipcub23BlockHistogramAlgorithmE1EtEvPT3_S3_.numbered_sgpr, 28
	.set _Z16histogram_kernelILj1024ELj1ELj1024ELN6hipcub23BlockHistogramAlgorithmE1EtEvPT3_S3_.num_named_barrier, 0
	.set _Z16histogram_kernelILj1024ELj1ELj1024ELN6hipcub23BlockHistogramAlgorithmE1EtEvPT3_S3_.private_seg_size, 0
	.set _Z16histogram_kernelILj1024ELj1ELj1024ELN6hipcub23BlockHistogramAlgorithmE1EtEvPT3_S3_.uses_vcc, 1
	.set _Z16histogram_kernelILj1024ELj1ELj1024ELN6hipcub23BlockHistogramAlgorithmE1EtEvPT3_S3_.uses_flat_scratch, 0
	.set _Z16histogram_kernelILj1024ELj1ELj1024ELN6hipcub23BlockHistogramAlgorithmE1EtEvPT3_S3_.has_dyn_sized_stack, 0
	.set _Z16histogram_kernelILj1024ELj1ELj1024ELN6hipcub23BlockHistogramAlgorithmE1EtEvPT3_S3_.has_recursion, 0
	.set _Z16histogram_kernelILj1024ELj1ELj1024ELN6hipcub23BlockHistogramAlgorithmE1EtEvPT3_S3_.has_indirect_call, 0
	.section	.AMDGPU.csdata,"",@progbits
; Kernel info:
; codeLenInByte = 2452
; TotalNumSgprs: 32
; NumVgprs: 24
; ScratchSize: 0
; MemoryBound: 0
; FloatMode: 240
; IeeeMode: 1
; LDSByteSize: 18496 bytes/workgroup (compile time only)
; SGPRBlocks: 8
; VGPRBlocks: 7
; NumSGPRsForWavesPerEU: 65
; NumVGPRsForWavesPerEU: 29
; Occupancy: 8
; WaveLimiterHint : 0
; COMPUTE_PGM_RSRC2:SCRATCH_EN: 0
; COMPUTE_PGM_RSRC2:USER_SGPR: 6
; COMPUTE_PGM_RSRC2:TRAP_HANDLER: 0
; COMPUTE_PGM_RSRC2:TGID_X_EN: 1
; COMPUTE_PGM_RSRC2:TGID_Y_EN: 0
; COMPUTE_PGM_RSRC2:TGID_Z_EN: 0
; COMPUTE_PGM_RSRC2:TIDIG_COMP_CNT: 2
	.section	.text._Z16histogram_kernelILj512ELj4ELj512ELN6hipcub23BlockHistogramAlgorithmE1EtEvPT3_S3_,"axG",@progbits,_Z16histogram_kernelILj512ELj4ELj512ELN6hipcub23BlockHistogramAlgorithmE1EtEvPT3_S3_,comdat
	.protected	_Z16histogram_kernelILj512ELj4ELj512ELN6hipcub23BlockHistogramAlgorithmE1EtEvPT3_S3_ ; -- Begin function _Z16histogram_kernelILj512ELj4ELj512ELN6hipcub23BlockHistogramAlgorithmE1EtEvPT3_S3_
	.globl	_Z16histogram_kernelILj512ELj4ELj512ELN6hipcub23BlockHistogramAlgorithmE1EtEvPT3_S3_
	.p2align	8
	.type	_Z16histogram_kernelILj512ELj4ELj512ELN6hipcub23BlockHistogramAlgorithmE1EtEvPT3_S3_,@function
_Z16histogram_kernelILj512ELj4ELj512ELN6hipcub23BlockHistogramAlgorithmE1EtEvPT3_S3_: ; @_Z16histogram_kernelILj512ELj4ELj512ELN6hipcub23BlockHistogramAlgorithmE1EtEvPT3_S3_
; %bb.0:
	s_load_dwordx4 s[36:39], s[4:5], 0x0
	v_lshlrev_b32_e32 v7, 2, v0
	v_mov_b32_e32 v3, 0
	v_lshl_or_b32 v4, s6, 11, v7
	v_mov_b32_e32 v5, v3
	v_lshlrev_b64 v[4:5], 1, v[4:5]
	s_waitcnt lgkmcnt(0)
	v_mov_b32_e32 v6, s37
	v_add_co_u32_e32 v4, vcc, s36, v4
	v_addc_co_u32_e32 v5, vcc, v6, v5, vcc
	global_load_dwordx2 v[4:5], v[4:5], off
	s_movk_i32 s0, 0x200
	v_cmp_gt_u32_e32 vcc, s0, v0
	v_lshlrev_b32_e32 v6, 1, v0
	s_and_saveexec_b64 s[0:1], vcc
; %bb.1:
	ds_write_b16 v6, v3 offset:8224
; %bb.2:
	s_or_b64 exec, exec, s[0:1]
	s_waitcnt vmcnt(0)
	v_lshrrev_b32_e32 v9, 16, v5
	v_and_b32_e32 v11, 0xffff, v5
	v_mbcnt_lo_u32_b32 v5, -1, 0
	v_mbcnt_hi_u32_b32 v5, -1, v5
	v_lshrrev_b32_e32 v12, 2, v5
	v_and_b32_e32 v13, 64, v5
	v_or_b32_e32 v10, v12, v13
	v_lshrrev_b32_e32 v8, 16, v4
	v_and_b32_e32 v4, 0xffff, v4
	v_lshlrev_b32_e32 v10, 2, v10
	ds_bpermute_b32 v14, v10, v4
	ds_bpermute_b32 v16, v10, v8
	;; [unrolled: 1-line block ×3, first 2 shown]
	v_and_b32_e32 v15, 3, v5
	v_cmp_eq_u32_e64 s[0:1], 0, v15
	s_waitcnt lgkmcnt(2)
	v_and_b32_e32 v14, 0xffff, v14
	ds_bpermute_b32 v18, v10, v9
	v_cndmask_b32_e64 v14, 0, v14, s[0:1]
	s_waitcnt lgkmcnt(2)
	v_and_b32_e32 v16, 0xffff, v16
	v_cmp_eq_u32_e64 s[2:3], 1, v15
	v_cndmask_b32_e64 v14, v14, v16, s[2:3]
	s_waitcnt lgkmcnt(1)
	v_and_b32_e32 v16, 0xffff, v17
	ds_bpermute_b32 v17, v10, v4 offset:64
	v_cmp_eq_u32_e64 s[8:9], 2, v15
	v_cndmask_b32_e64 v14, v14, v16, s[8:9]
	s_waitcnt lgkmcnt(1)
	v_and_b32_e32 v16, 0xffff, v18
	v_cmp_eq_u32_e64 s[10:11], 3, v15
	ds_bpermute_b32 v15, v10, v8 offset:64
	v_cndmask_b32_e64 v14, v14, v16, s[10:11]
	s_mov_b32 s13, 0x5040100
	s_waitcnt lgkmcnt(1)
	v_perm_b32 v16, v17, v14, s13
	ds_bpermute_b32 v17, v10, v11 offset:64
	v_cndmask_b32_e64 v14, v14, v16, s[0:1]
	s_waitcnt lgkmcnt(1)
	v_perm_b32 v15, v15, v14, s13
	v_cndmask_b32_e64 v14, v14, v15, s[2:3]
	ds_bpermute_b32 v15, v10, v9 offset:64
	s_waitcnt lgkmcnt(1)
	v_perm_b32 v16, v17, v14, s13
	v_cndmask_b32_e64 v14, v14, v16, s[8:9]
	v_or_b32_e32 v16, 0x80, v10
	ds_bpermute_b32 v17, v16, v4
	s_waitcnt lgkmcnt(1)
	v_perm_b32 v10, v15, v14, s13
	ds_bpermute_b32 v15, v16, v8
	v_cndmask_b32_e64 v10, v14, v10, s[10:11]
	ds_bpermute_b32 v14, v16, v11
	s_waitcnt lgkmcnt(2)
	v_and_b32_e32 v17, 0xffff, v17
	v_add_u32_e32 v12, 48, v12
	s_mov_b32 s7, 0xffff
	v_cndmask_b32_e64 v17, 0, v17, s[0:1]
	ds_bpermute_b32 v16, v16, v9
	v_and_or_b32 v12, v12, 63, v13
	s_waitcnt lgkmcnt(2)
	v_bfi_b32 v15, s7, v15, v17
	v_lshlrev_b32_e32 v12, 2, v12
	v_cndmask_b32_e64 v15, v17, v15, s[2:3]
	ds_bpermute_b32 v4, v12, v4
	s_waitcnt lgkmcnt(2)
	v_bfi_b32 v14, s7, v14, v15
	v_cndmask_b32_e64 v13, v15, v14, s[8:9]
	ds_bpermute_b32 v8, v12, v8
	s_waitcnt lgkmcnt(2)
	v_bfi_b32 v14, s7, v16, v13
	v_cndmask_b32_e64 v13, v13, v14, s[10:11]
	s_waitcnt lgkmcnt(1)
	v_perm_b32 v4, v4, v13, s13
	s_waitcnt lgkmcnt(0)
	s_barrier
	v_cndmask_b32_e64 v4, v13, v4, s[0:1]
	s_barrier
	s_load_dword s0, s[4:5], 0x1c
	v_perm_b32 v8, v8, v4, s13
	v_cndmask_b32_e64 v4, v4, v8, s[2:3]
	ds_bpermute_b32 v8, v12, v11
	ds_bpermute_b32 v9, v12, v9
	s_waitcnt lgkmcnt(0)
	s_lshr_b32 s1, s0, 16
	s_and_b32 s0, s0, 0xffff
	v_mad_u32_u24 v1, v2, s1, v1
	s_mov_b32 s12, 0
	v_perm_b32 v8, v8, v4, s13
	v_mad_u64_u32 v[1:2], s[0:1], v1, s0, v[0:1]
	v_cndmask_b32_e64 v4, v4, v8, s[8:9]
	s_mov_b32 s1, s12
	v_perm_b32 v8, v9, v4, s13
	s_mov_b32 s13, s12
	s_mov_b32 s0, s12
	v_mov_b32_e32 v11, s12
	v_mov_b32_e32 v16, s1
	v_cndmask_b32_e64 v14, v4, v8, s[10:11]
	v_lshlrev_b32_e32 v8, 2, v7
	v_mov_b32_e32 v12, s13
	v_mov_b32_e32 v15, s0
	ds_write2_b64 v8, v[11:12], v[15:16] offset0:4 offset1:5
	v_mov_b32_e32 v11, 3
	v_lshrrev_b32_e32 v1, 4, v1
	v_lshlrev_b16_sdwa v2, v11, v10 dst_sel:DWORD dst_unused:UNUSED_PAD src0_sel:DWORD src1_sel:BYTE_0
	v_and_b32_e32 v9, 0xffffffc, v1
	v_and_b32_e32 v1, 1, v10
	v_lshl_add_u32 v16, v2, 2, v9
	v_add_co_u32_e64 v2, s[0:1], -1, v1
	v_addc_co_u32_e64 v4, s[0:1], 0, -1, s[0:1]
	v_cmp_ne_u32_e64 s[0:1], 0, v1
	v_xor_b32_e32 v1, s1, v4
	v_lshlrev_b32_e32 v4, 30, v10
	v_xor_b32_e32 v2, s0, v2
	v_cmp_gt_i64_e64 s[0:1], 0, v[3:4]
	v_not_b32_e32 v4, v4
	v_ashrrev_i32_e32 v4, 31, v4
	v_and_b32_e32 v2, exec_lo, v2
	v_xor_b32_e32 v12, s1, v4
	v_xor_b32_e32 v4, s0, v4
	v_and_b32_e32 v2, v2, v4
	v_lshlrev_b32_e32 v4, 29, v10
	v_cmp_gt_i64_e64 s[0:1], 0, v[3:4]
	v_not_b32_e32 v4, v4
	v_and_b32_e32 v1, exec_hi, v1
	v_ashrrev_i32_e32 v4, 31, v4
	v_and_b32_e32 v1, v1, v12
	v_xor_b32_e32 v12, s1, v4
	v_xor_b32_e32 v4, s0, v4
	v_and_b32_e32 v2, v2, v4
	v_lshlrev_b32_e32 v4, 28, v10
	v_cmp_gt_i64_e64 s[0:1], 0, v[3:4]
	v_not_b32_e32 v4, v4
	v_ashrrev_i32_e32 v4, 31, v4
	v_and_b32_e32 v1, v1, v12
	v_xor_b32_e32 v12, s1, v4
	v_xor_b32_e32 v4, s0, v4
	v_and_b32_e32 v2, v2, v4
	v_lshlrev_b32_e32 v4, 27, v10
	v_cmp_gt_i64_e64 s[0:1], 0, v[3:4]
	v_not_b32_e32 v4, v4
	;; [unrolled: 8-line block ×4, first 2 shown]
	v_ashrrev_i32_e32 v4, 31, v4
	v_and_b32_e32 v1, v1, v12
	v_xor_b32_e32 v12, s1, v4
	v_xor_b32_e32 v4, s0, v4
	v_and_b32_e32 v1, v1, v12
	v_and_b32_e32 v12, v2, v4
	v_lshlrev_b32_e32 v4, 24, v10
	v_cmp_gt_i64_e64 s[0:1], 0, v[3:4]
	v_not_b32_e32 v2, v4
	v_ashrrev_i32_e32 v2, 31, v2
	v_xor_b32_e32 v3, s1, v2
	v_xor_b32_e32 v4, s0, v2
	v_and_b32_e32 v2, v1, v3
	v_and_b32_e32 v1, v12, v4
	v_mbcnt_lo_u32_b32 v3, v1, 0
	v_mbcnt_hi_u32_b32 v17, v2, v3
	v_cmp_ne_u64_e64 s[0:1], 0, v[1:2]
	v_cmp_eq_u32_e64 s[2:3], 0, v17
	s_and_b64 s[2:3], s[2:3], s[0:1]
	s_waitcnt lgkmcnt(0)
	s_barrier
	; wave barrier
	s_and_saveexec_b64 s[0:1], s[2:3]
; %bb.3:
	v_bcnt_u32_b32 v1, v1, 0
	v_bcnt_u32_b32 v1, v2, v1
	ds_write_b32 v16, v1 offset:32
; %bb.4:
	s_or_b64 exec, exec, s[0:1]
	v_bfe_u32 v2, v10, 16, 1
	v_add_co_u32_e64 v3, s[0:1], -1, v2
	v_addc_co_u32_e64 v4, s[0:1], 0, -1, s[0:1]
	v_lshrrev_b32_e32 v18, 16, v10
	v_cmp_ne_u32_e64 s[0:1], 0, v2
	v_lshlrev_b16_sdwa v1, v11, v18 dst_sel:DWORD dst_unused:UNUSED_PAD src0_sel:DWORD src1_sel:BYTE_0
	v_xor_b32_e32 v2, s1, v4
	v_lshl_add_u32 v20, v1, 2, v9
	v_mov_b32_e32 v1, 0
	v_and_b32_e32 v4, exec_hi, v2
	v_lshlrev_b32_e32 v2, 30, v18
	v_xor_b32_e32 v3, s0, v3
	v_cmp_gt_i64_e64 s[0:1], 0, v[1:2]
	v_not_b32_e32 v2, v2
	v_ashrrev_i32_e32 v2, 31, v2
	v_and_b32_e32 v3, exec_lo, v3
	v_xor_b32_e32 v11, s1, v2
	v_xor_b32_e32 v2, s0, v2
	v_and_b32_e32 v3, v3, v2
	v_lshlrev_b32_e32 v2, 29, v18
	v_cmp_gt_i64_e64 s[0:1], 0, v[1:2]
	v_not_b32_e32 v2, v2
	v_ashrrev_i32_e32 v2, 31, v2
	v_and_b32_e32 v4, v4, v11
	v_xor_b32_e32 v11, s1, v2
	v_xor_b32_e32 v2, s0, v2
	v_and_b32_e32 v3, v3, v2
	v_lshlrev_b32_e32 v2, 28, v18
	v_cmp_gt_i64_e64 s[0:1], 0, v[1:2]
	v_not_b32_e32 v2, v2
	v_ashrrev_i32_e32 v2, 31, v2
	v_and_b32_e32 v4, v4, v11
	;; [unrolled: 8-line block ×5, first 2 shown]
	v_xor_b32_e32 v11, s1, v2
	v_xor_b32_e32 v2, s0, v2
	v_and_b32_e32 v4, v4, v11
	v_and_b32_e32 v11, v3, v2
	v_lshlrev_b32_e32 v2, 24, v18
	v_cmp_gt_i64_e64 s[0:1], 0, v[1:2]
	v_not_b32_e32 v2, v2
	v_ashrrev_i32_e32 v2, 31, v2
	v_xor_b32_e32 v3, s1, v2
	v_xor_b32_e32 v2, s0, v2
	; wave barrier
	ds_read_b32 v19, v20 offset:32
	v_and_b32_e32 v2, v11, v2
	v_and_b32_e32 v3, v4, v3
	v_mbcnt_lo_u32_b32 v4, v2, 0
	v_mbcnt_hi_u32_b32 v21, v3, v4
	v_cmp_ne_u64_e64 s[0:1], 0, v[2:3]
	v_cmp_eq_u32_e64 s[2:3], 0, v21
	s_and_b64 s[2:3], s[0:1], s[2:3]
	; wave barrier
	s_and_saveexec_b64 s[0:1], s[2:3]
	s_cbranch_execz .LBB1_6
; %bb.5:
	v_bcnt_u32_b32 v2, v2, 0
	v_bcnt_u32_b32 v2, v3, v2
	s_waitcnt lgkmcnt(0)
	v_add_u32_e32 v2, v19, v2
	ds_write_b32 v20, v2 offset:32
.LBB1_6:
	s_or_b64 exec, exec, s[0:1]
	v_mov_b32_e32 v3, 3
	v_lshlrev_b16_sdwa v2, v3, v14 dst_sel:DWORD dst_unused:UNUSED_PAD src0_sel:DWORD src1_sel:BYTE_0
	v_lshl_add_u32 v23, v2, 2, v9
	v_and_b32_e32 v2, 1, v14
	v_add_co_u32_e64 v4, s[0:1], -1, v2
	v_addc_co_u32_e64 v11, s[0:1], 0, -1, s[0:1]
	v_cmp_ne_u32_e64 s[0:1], 0, v2
	v_xor_b32_e32 v2, s1, v11
	v_and_b32_e32 v11, exec_hi, v2
	v_lshlrev_b32_e32 v2, 30, v14
	v_xor_b32_e32 v4, s0, v4
	v_cmp_gt_i64_e64 s[0:1], 0, v[1:2]
	v_not_b32_e32 v2, v2
	v_ashrrev_i32_e32 v2, 31, v2
	v_and_b32_e32 v4, exec_lo, v4
	v_xor_b32_e32 v12, s1, v2
	v_xor_b32_e32 v2, s0, v2
	v_and_b32_e32 v4, v4, v2
	v_lshlrev_b32_e32 v2, 29, v14
	v_cmp_gt_i64_e64 s[0:1], 0, v[1:2]
	v_not_b32_e32 v2, v2
	v_ashrrev_i32_e32 v2, 31, v2
	v_and_b32_e32 v11, v11, v12
	v_xor_b32_e32 v12, s1, v2
	v_xor_b32_e32 v2, s0, v2
	v_and_b32_e32 v4, v4, v2
	v_lshlrev_b32_e32 v2, 28, v14
	v_cmp_gt_i64_e64 s[0:1], 0, v[1:2]
	v_not_b32_e32 v2, v2
	v_ashrrev_i32_e32 v2, 31, v2
	v_and_b32_e32 v11, v11, v12
	;; [unrolled: 8-line block ×5, first 2 shown]
	v_xor_b32_e32 v12, s1, v2
	v_xor_b32_e32 v2, s0, v2
	v_and_b32_e32 v4, v4, v2
	v_lshlrev_b32_e32 v2, 24, v14
	v_cmp_gt_i64_e64 s[0:1], 0, v[1:2]
	v_not_b32_e32 v1, v2
	v_ashrrev_i32_e32 v1, 31, v1
	v_xor_b32_e32 v2, s1, v1
	v_xor_b32_e32 v1, s0, v1
	; wave barrier
	ds_read_b32 v22, v23 offset:32
	v_and_b32_e32 v11, v11, v12
	v_and_b32_e32 v1, v4, v1
	;; [unrolled: 1-line block ×3, first 2 shown]
	v_mbcnt_lo_u32_b32 v4, v1, 0
	v_mbcnt_hi_u32_b32 v24, v2, v4
	v_cmp_ne_u64_e64 s[0:1], 0, v[1:2]
	v_cmp_eq_u32_e64 s[2:3], 0, v24
	s_and_b64 s[2:3], s[0:1], s[2:3]
	; wave barrier
	s_and_saveexec_b64 s[0:1], s[2:3]
	s_cbranch_execz .LBB1_8
; %bb.7:
	v_bcnt_u32_b32 v1, v1, 0
	v_bcnt_u32_b32 v1, v2, v1
	s_waitcnt lgkmcnt(0)
	v_add_u32_e32 v1, v22, v1
	ds_write_b32 v23, v1 offset:32
.LBB1_8:
	s_or_b64 exec, exec, s[0:1]
	v_lshrrev_b32_e32 v25, 16, v14
	v_bfe_u32 v2, v14, 16, 1
	v_lshlrev_b16_sdwa v1, v3, v25 dst_sel:DWORD dst_unused:UNUSED_PAD src0_sel:DWORD src1_sel:BYTE_0
	v_add_co_u32_e64 v3, s[0:1], -1, v2
	v_addc_co_u32_e64 v4, s[0:1], 0, -1, s[0:1]
	v_cmp_ne_u32_e64 s[0:1], 0, v2
	v_xor_b32_e32 v2, s1, v4
	v_lshl_add_u32 v27, v1, 2, v9
	v_mov_b32_e32 v1, 0
	v_and_b32_e32 v4, exec_hi, v2
	v_lshlrev_b32_e32 v2, 30, v25
	v_xor_b32_e32 v3, s0, v3
	v_cmp_gt_i64_e64 s[0:1], 0, v[1:2]
	v_not_b32_e32 v2, v2
	v_ashrrev_i32_e32 v2, 31, v2
	v_and_b32_e32 v3, exec_lo, v3
	v_xor_b32_e32 v12, s1, v2
	v_xor_b32_e32 v2, s0, v2
	v_and_b32_e32 v3, v3, v2
	v_lshlrev_b32_e32 v2, 29, v25
	v_cmp_gt_i64_e64 s[0:1], 0, v[1:2]
	v_not_b32_e32 v2, v2
	v_ashrrev_i32_e32 v2, 31, v2
	v_and_b32_e32 v4, v4, v12
	v_xor_b32_e32 v12, s1, v2
	v_xor_b32_e32 v2, s0, v2
	v_and_b32_e32 v3, v3, v2
	v_lshlrev_b32_e32 v2, 28, v25
	v_cmp_gt_i64_e64 s[0:1], 0, v[1:2]
	v_not_b32_e32 v2, v2
	v_ashrrev_i32_e32 v2, 31, v2
	v_and_b32_e32 v4, v4, v12
	;; [unrolled: 8-line block ×5, first 2 shown]
	v_xor_b32_e32 v12, s1, v2
	v_xor_b32_e32 v2, s0, v2
	v_and_b32_e32 v3, v3, v2
	v_lshlrev_b32_e32 v2, 24, v25
	v_cmp_gt_i64_e64 s[0:1], 0, v[1:2]
	v_not_b32_e32 v1, v2
	v_ashrrev_i32_e32 v1, 31, v1
	v_xor_b32_e32 v2, s1, v1
	v_xor_b32_e32 v1, s0, v1
	; wave barrier
	ds_read_b32 v26, v27 offset:32
	v_and_b32_e32 v4, v4, v12
	v_and_b32_e32 v1, v3, v1
	;; [unrolled: 1-line block ×3, first 2 shown]
	v_mbcnt_lo_u32_b32 v3, v1, 0
	v_mbcnt_hi_u32_b32 v28, v2, v3
	v_cmp_ne_u64_e64 s[0:1], 0, v[1:2]
	v_cmp_eq_u32_e64 s[2:3], 0, v28
	v_and_b32_e32 v11, 0x1c0, v0
	s_and_b64 s[2:3], s[0:1], s[2:3]
	; wave barrier
	s_and_saveexec_b64 s[0:1], s[2:3]
	s_cbranch_execz .LBB1_10
; %bb.9:
	v_bcnt_u32_b32 v1, v1, 0
	v_bcnt_u32_b32 v1, v2, v1
	s_waitcnt lgkmcnt(0)
	v_add_u32_e32 v1, v26, v1
	ds_write_b32 v27, v1 offset:32
.LBB1_10:
	s_or_b64 exec, exec, s[0:1]
	v_and_b32_e32 v1, 16, v5
	v_cmp_eq_u32_e64 s[4:5], 0, v1
	; wave barrier
	s_waitcnt lgkmcnt(0)
	s_barrier
	ds_read2_b64 v[1:4], v8 offset0:4 offset1:5
	v_and_b32_e32 v13, 15, v5
	v_cmp_eq_u32_e64 s[16:17], 0, v13
	v_cmp_lt_u32_e64 s[18:19], 1, v13
	v_cmp_lt_u32_e64 s[22:23], 3, v13
	s_waitcnt lgkmcnt(0)
	v_add_u32_e32 v29, v2, v1
	v_add3_u32 v4, v29, v3, v4
	v_cmp_lt_u32_e64 s[24:25], 7, v13
	v_bfe_i32 v15, v5, 4, 1
	v_mov_b32_dpp v29, v4 row_shr:1 row_mask:0xf bank_mask:0xf
	v_cndmask_b32_e64 v29, v29, 0, s[16:17]
	v_add_u32_e32 v4, v29, v4
	v_or_b32_e32 v11, 63, v11
	v_cmp_lt_u32_e64 s[26:27], 31, v5
	v_mov_b32_dpp v29, v4 row_shr:2 row_mask:0xf bank_mask:0xf
	v_cndmask_b32_e64 v29, 0, v29, s[18:19]
	v_add_u32_e32 v4, v4, v29
	v_cmp_eq_u32_e64 s[30:31], v0, v11
	v_lshrrev_b32_e32 v11, 4, v0
	v_mov_b32_dpp v29, v4 row_shr:4 row_mask:0xf bank_mask:0xf
	v_cndmask_b32_e64 v29, 0, v29, s[22:23]
	v_add_u32_e32 v4, v4, v29
	v_mul_i32_i24_e32 v12, -12, v0
	v_and_b32_e32 v11, 28, v11
	v_mov_b32_dpp v29, v4 row_shr:8 row_mask:0xf bank_mask:0xf
	v_cndmask_b32_e64 v13, 0, v29, s[24:25]
	v_add_u32_e32 v4, v4, v13
	s_nop 1
	v_mov_b32_dpp v13, v4 row_bcast:15 row_mask:0xf bank_mask:0xf
	v_and_b32_e32 v13, v15, v13
	v_add_u32_e32 v4, v4, v13
	s_nop 1
	v_mov_b32_dpp v13, v4 row_bcast:31 row_mask:0xf bank_mask:0xf
	v_cndmask_b32_e64 v13, 0, v13, s[26:27]
	v_add_u32_e32 v29, v4, v13
	s_and_saveexec_b64 s[0:1], s[30:31]
; %bb.11:
	ds_write_b32 v11, v29
; %bb.12:
	s_or_b64 exec, exec, s[0:1]
	v_and_b32_e32 v4, 7, v5
	v_cmp_gt_u32_e64 s[20:21], 8, v0
	v_cmp_eq_u32_e64 s[14:15], 0, v4
	v_cmp_lt_u32_e64 s[12:13], 1, v4
	v_cmp_lt_u32_e64 s[8:9], 3, v4
	v_add_u32_e32 v12, v8, v12
	s_waitcnt lgkmcnt(0)
	s_barrier
	s_and_saveexec_b64 s[0:1], s[20:21]
	s_cbranch_execz .LBB1_14
; %bb.13:
	ds_read_b32 v4, v12
	s_waitcnt lgkmcnt(0)
	s_nop 0
	v_mov_b32_dpp v13, v4 row_shr:1 row_mask:0xf bank_mask:0xf
	v_cndmask_b32_e64 v13, v13, 0, s[14:15]
	v_add_u32_e32 v4, v13, v4
	s_nop 1
	v_mov_b32_dpp v13, v4 row_shr:2 row_mask:0xf bank_mask:0xf
	v_cndmask_b32_e64 v13, 0, v13, s[12:13]
	v_add_u32_e32 v4, v4, v13
	;; [unrolled: 4-line block ×3, first 2 shown]
	ds_write_b32 v12, v4
.LBB1_14:
	s_or_b64 exec, exec, s[0:1]
	v_subrev_co_u32_e64 v15, s[10:11], 1, v5
	v_cmp_lt_u32_e64 s[28:29], 63, v0
	v_add_u32_e32 v13, -4, v11
	v_mov_b32_e32 v4, 0
	v_mov_b32_e32 v30, 0
	s_waitcnt lgkmcnt(0)
	s_barrier
	s_and_saveexec_b64 s[0:1], s[28:29]
; %bb.15:
	ds_read_b32 v30, v13
; %bb.16:
	s_or_b64 exec, exec, s[0:1]
	v_and_b32_e32 v31, 0xffffffc0, v5
	v_cmp_lt_i32_e64 s[0:1], v15, v31
	v_cndmask_b32_e64 v15, v15, v5, s[0:1]
	v_lshlrev_b32_e32 v15, 2, v15
	s_waitcnt lgkmcnt(0)
	v_add_u32_e32 v29, v30, v29
	ds_bpermute_b32 v29, v15, v29
	v_cmp_eq_u32_e64 s[0:1], 0, v0
	v_lshlrev_b32_e32 v17, 1, v17
	s_mov_b32 s34, 0
	s_mov_b32 s36, s34
	s_waitcnt lgkmcnt(0)
	v_cndmask_b32_e64 v29, v29, v30, s[10:11]
	v_cndmask_b32_e64 v29, v29, 0, s[0:1]
	v_add_u32_e32 v30, v29, v1
	v_add_u32_e32 v1, v30, v2
	;; [unrolled: 1-line block ×3, first 2 shown]
	v_and_b32_e32 v3, 0x700, v7
	v_add_lshl_u32 v3, v5, v3, 1
	ds_write2_b64 v8, v[29:30], v[1:2] offset0:4 offset1:5
	s_waitcnt lgkmcnt(0)
	s_barrier
	ds_read_b32 v1, v16 offset:32
	ds_read_b32 v2, v20 offset:32
	;; [unrolled: 1-line block ×4, first 2 shown]
	s_waitcnt lgkmcnt(0)
	v_lshl_add_u32 v1, v1, 1, v17
	s_barrier
	ds_write_b16 v1, v10
	v_lshlrev_b32_e32 v1, 1, v21
	v_lshlrev_b32_e32 v10, 1, v19
	v_lshlrev_b32_e32 v2, 1, v2
	v_add3_u32 v1, v1, v10, v2
	ds_write_b16 v1, v18
	v_lshlrev_b32_e32 v1, 1, v24
	v_lshlrev_b32_e32 v2, 1, v22
	v_lshlrev_b32_e32 v5, 1, v5
	v_add3_u32 v1, v1, v2, v5
	;; [unrolled: 5-line block ×3, first 2 shown]
	ds_write_b16 v1, v25
	s_mov_b32 s35, s34
	s_mov_b32 s37, s34
	v_mov_b32_e32 v1, s34
	v_mov_b32_e32 v18, s36
	s_waitcnt lgkmcnt(0)
	s_barrier
	ds_read_u16 v17, v3
	ds_read_u16 v16, v3 offset:128
	ds_read_u16 v14, v3 offset:256
	;; [unrolled: 1-line block ×3, first 2 shown]
	v_mov_b32_e32 v2, s35
	v_mov_b32_e32 v19, s37
	s_waitcnt lgkmcnt(0)
	s_barrier
	ds_write2_b64 v8, v[1:2], v[18:19] offset0:4 offset1:5
	v_mov_b32_e32 v19, 3
	v_lshlrev_b16_sdwa v1, v19, v17 dst_sel:DWORD dst_unused:UNUSED_PAD src0_sel:DWORD src1_sel:BYTE_1
	v_mov_b32_e32 v21, 1
	v_lshl_add_u32 v18, v1, 2, v9
	v_and_b32_sdwa v1, v17, v21 dst_sel:DWORD dst_unused:UNUSED_PAD src0_sel:BYTE_1 src1_sel:DWORD
	v_add_co_u32_e64 v2, s[34:35], -1, v1
	v_addc_co_u32_e64 v3, s[34:35], 0, -1, s[34:35]
	v_cmp_ne_u32_e64 s[34:35], 0, v1
	v_xor_b32_e32 v1, s35, v3
	v_mov_b32_e32 v3, 30
	v_lshlrev_b32_sdwa v5, v3, v17 dst_sel:DWORD dst_unused:UNUSED_PAD src0_sel:DWORD src1_sel:BYTE_1
	v_xor_b32_e32 v2, s34, v2
	v_cmp_gt_i64_e64 s[34:35], 0, v[4:5]
	v_not_b32_e32 v5, v5
	v_ashrrev_i32_e32 v5, 31, v5
	v_and_b32_e32 v2, exec_lo, v2
	v_xor_b32_e32 v20, s35, v5
	v_xor_b32_e32 v5, s34, v5
	v_mov_b32_e32 v22, 29
	v_and_b32_e32 v2, v2, v5
	v_lshlrev_b32_sdwa v5, v22, v17 dst_sel:DWORD dst_unused:UNUSED_PAD src0_sel:DWORD src1_sel:BYTE_1
	v_cmp_gt_i64_e64 s[34:35], 0, v[4:5]
	v_not_b32_e32 v5, v5
	v_and_b32_e32 v1, exec_hi, v1
	v_ashrrev_i32_e32 v5, 31, v5
	v_and_b32_e32 v1, v1, v20
	v_xor_b32_e32 v20, s35, v5
	v_xor_b32_e32 v5, s34, v5
	v_mov_b32_e32 v23, 28
	v_and_b32_e32 v2, v2, v5
	v_lshlrev_b32_sdwa v5, v23, v17 dst_sel:DWORD dst_unused:UNUSED_PAD src0_sel:DWORD src1_sel:BYTE_1
	v_cmp_gt_i64_e64 s[34:35], 0, v[4:5]
	v_not_b32_e32 v5, v5
	v_ashrrev_i32_e32 v5, 31, v5
	v_and_b32_e32 v1, v1, v20
	v_xor_b32_e32 v20, s35, v5
	v_xor_b32_e32 v5, s34, v5
	v_mov_b32_e32 v24, 27
	v_and_b32_e32 v2, v2, v5
	v_lshlrev_b32_sdwa v5, v24, v17 dst_sel:DWORD dst_unused:UNUSED_PAD src0_sel:DWORD src1_sel:BYTE_1
	v_cmp_gt_i64_e64 s[34:35], 0, v[4:5]
	v_not_b32_e32 v5, v5
	;; [unrolled: 9-line block ×4, first 2 shown]
	v_ashrrev_i32_e32 v5, 31, v5
	v_and_b32_e32 v1, v1, v20
	v_xor_b32_e32 v20, s35, v5
	v_xor_b32_e32 v5, s34, v5
	v_mov_b32_e32 v27, 24
	v_and_b32_e32 v1, v1, v20
	v_and_b32_e32 v20, v2, v5
	v_lshlrev_b32_sdwa v5, v27, v17 dst_sel:DWORD dst_unused:UNUSED_PAD src0_sel:DWORD src1_sel:BYTE_1
	v_cmp_gt_i64_e64 s[34:35], 0, v[4:5]
	v_not_b32_e32 v2, v5
	v_ashrrev_i32_e32 v2, 31, v2
	v_xor_b32_e32 v4, s35, v2
	v_xor_b32_e32 v5, s34, v2
	v_and_b32_e32 v2, v1, v4
	v_and_b32_e32 v1, v20, v5
	v_mbcnt_lo_u32_b32 v4, v1, 0
	v_mbcnt_hi_u32_b32 v5, v2, v4
	v_cmp_ne_u64_e64 s[34:35], 0, v[1:2]
	v_cmp_eq_u32_e64 s[36:37], 0, v5
	v_cmp_ne_u32_e64 s[2:3], 0, v0
	s_and_b64 s[36:37], s[34:35], s[36:37]
	s_waitcnt lgkmcnt(0)
	s_barrier
	; wave barrier
	s_and_saveexec_b64 s[34:35], s[36:37]
; %bb.17:
	v_bcnt_u32_b32 v1, v1, 0
	v_bcnt_u32_b32 v1, v2, v1
	ds_write_b32 v18, v1 offset:32
; %bb.18:
	s_or_b64 exec, exec, s[34:35]
	v_and_b32_sdwa v2, v16, v21 dst_sel:DWORD dst_unused:UNUSED_PAD src0_sel:BYTE_1 src1_sel:DWORD
	v_add_co_u32_e64 v4, s[34:35], -1, v2
	v_addc_co_u32_e64 v21, s[34:35], 0, -1, s[34:35]
	v_cmp_ne_u32_e64 s[34:35], 0, v2
	v_lshlrev_b16_sdwa v1, v19, v16 dst_sel:DWORD dst_unused:UNUSED_PAD src0_sel:DWORD src1_sel:BYTE_1
	v_xor_b32_e32 v2, s35, v21
	v_lshl_add_u32 v20, v1, 2, v9
	v_mov_b32_e32 v1, 0
	v_and_b32_e32 v21, exec_hi, v2
	v_lshlrev_b32_sdwa v2, v3, v16 dst_sel:DWORD dst_unused:UNUSED_PAD src0_sel:DWORD src1_sel:BYTE_1
	v_xor_b32_e32 v4, s34, v4
	v_cmp_gt_i64_e64 s[34:35], 0, v[1:2]
	v_not_b32_e32 v2, v2
	v_ashrrev_i32_e32 v2, 31, v2
	v_and_b32_e32 v4, exec_lo, v4
	v_xor_b32_e32 v3, s35, v2
	v_xor_b32_e32 v2, s34, v2
	v_and_b32_e32 v4, v4, v2
	v_lshlrev_b32_sdwa v2, v22, v16 dst_sel:DWORD dst_unused:UNUSED_PAD src0_sel:DWORD src1_sel:BYTE_1
	v_cmp_gt_i64_e64 s[34:35], 0, v[1:2]
	v_not_b32_e32 v2, v2
	v_ashrrev_i32_e32 v2, 31, v2
	v_and_b32_e32 v3, v21, v3
	v_xor_b32_e32 v21, s35, v2
	v_xor_b32_e32 v2, s34, v2
	v_and_b32_e32 v4, v4, v2
	v_lshlrev_b32_sdwa v2, v23, v16 dst_sel:DWORD dst_unused:UNUSED_PAD src0_sel:DWORD src1_sel:BYTE_1
	v_cmp_gt_i64_e64 s[34:35], 0, v[1:2]
	v_not_b32_e32 v2, v2
	v_ashrrev_i32_e32 v2, 31, v2
	v_and_b32_e32 v3, v3, v21
	;; [unrolled: 8-line block ×6, first 2 shown]
	v_xor_b32_e32 v21, s35, v2
	v_xor_b32_e32 v2, s34, v2
	; wave barrier
	ds_read_b32 v19, v20 offset:32
	v_and_b32_e32 v2, v4, v2
	v_and_b32_e32 v3, v3, v21
	v_mbcnt_lo_u32_b32 v4, v2, 0
	v_mbcnt_hi_u32_b32 v21, v3, v4
	v_cmp_ne_u64_e64 s[34:35], 0, v[2:3]
	v_cmp_eq_u32_e64 s[36:37], 0, v21
	s_and_b64 s[36:37], s[34:35], s[36:37]
	; wave barrier
	s_and_saveexec_b64 s[34:35], s[36:37]
	s_cbranch_execz .LBB1_20
; %bb.19:
	v_bcnt_u32_b32 v2, v2, 0
	v_bcnt_u32_b32 v2, v3, v2
	s_waitcnt lgkmcnt(0)
	v_add_u32_e32 v2, v19, v2
	ds_write_b32 v20, v2 offset:32
.LBB1_20:
	s_or_b64 exec, exec, s[34:35]
	v_mov_b32_e32 v3, 3
	v_lshlrev_b16_sdwa v2, v3, v14 dst_sel:DWORD dst_unused:UNUSED_PAD src0_sel:DWORD src1_sel:BYTE_1
	v_mov_b32_e32 v26, 1
	v_lshl_add_u32 v23, v2, 2, v9
	v_and_b32_sdwa v2, v14, v26 dst_sel:DWORD dst_unused:UNUSED_PAD src0_sel:BYTE_1 src1_sel:DWORD
	v_add_co_u32_e64 v4, s[34:35], -1, v2
	v_addc_co_u32_e64 v24, s[34:35], 0, -1, s[34:35]
	v_cmp_ne_u32_e64 s[34:35], 0, v2
	v_xor_b32_e32 v4, s34, v4
	v_xor_b32_e32 v2, s35, v24
	v_and_b32_e32 v25, exec_lo, v4
	v_mov_b32_e32 v4, 30
	v_and_b32_e32 v24, exec_hi, v2
	v_lshlrev_b32_sdwa v2, v4, v14 dst_sel:DWORD dst_unused:UNUSED_PAD src0_sel:DWORD src1_sel:BYTE_1
	v_cmp_gt_i64_e64 s[34:35], 0, v[1:2]
	v_not_b32_e32 v2, v2
	v_ashrrev_i32_e32 v2, 31, v2
	v_xor_b32_e32 v27, s35, v2
	v_xor_b32_e32 v2, s34, v2
	v_and_b32_e32 v24, v24, v27
	v_mov_b32_e32 v27, 29
	v_and_b32_e32 v25, v25, v2
	v_lshlrev_b32_sdwa v2, v27, v14 dst_sel:DWORD dst_unused:UNUSED_PAD src0_sel:DWORD src1_sel:BYTE_1
	v_cmp_gt_i64_e64 s[34:35], 0, v[1:2]
	v_not_b32_e32 v2, v2
	v_ashrrev_i32_e32 v2, 31, v2
	v_xor_b32_e32 v28, s35, v2
	v_xor_b32_e32 v2, s34, v2
	v_and_b32_e32 v24, v24, v28
	v_mov_b32_e32 v28, 28
	v_and_b32_e32 v25, v25, v2
	v_lshlrev_b32_sdwa v2, v28, v14 dst_sel:DWORD dst_unused:UNUSED_PAD src0_sel:DWORD src1_sel:BYTE_1
	v_cmp_gt_i64_e64 s[34:35], 0, v[1:2]
	v_not_b32_e32 v2, v2
	v_ashrrev_i32_e32 v2, 31, v2
	v_xor_b32_e32 v29, s35, v2
	v_xor_b32_e32 v2, s34, v2
	v_and_b32_e32 v24, v24, v29
	v_mov_b32_e32 v29, 27
	v_and_b32_e32 v25, v25, v2
	v_lshlrev_b32_sdwa v2, v29, v14 dst_sel:DWORD dst_unused:UNUSED_PAD src0_sel:DWORD src1_sel:BYTE_1
	v_cmp_gt_i64_e64 s[34:35], 0, v[1:2]
	v_not_b32_e32 v2, v2
	v_ashrrev_i32_e32 v2, 31, v2
	v_xor_b32_e32 v30, s35, v2
	v_xor_b32_e32 v2, s34, v2
	v_and_b32_e32 v24, v24, v30
	v_mov_b32_e32 v30, 26
	v_and_b32_e32 v25, v25, v2
	v_lshlrev_b32_sdwa v2, v30, v14 dst_sel:DWORD dst_unused:UNUSED_PAD src0_sel:DWORD src1_sel:BYTE_1
	v_cmp_gt_i64_e64 s[34:35], 0, v[1:2]
	v_not_b32_e32 v2, v2
	v_ashrrev_i32_e32 v2, 31, v2
	v_xor_b32_e32 v31, s35, v2
	v_xor_b32_e32 v2, s34, v2
	v_and_b32_e32 v24, v24, v31
	v_mov_b32_e32 v31, 25
	v_and_b32_e32 v25, v25, v2
	v_lshlrev_b32_sdwa v2, v31, v14 dst_sel:DWORD dst_unused:UNUSED_PAD src0_sel:DWORD src1_sel:BYTE_1
	v_cmp_gt_i64_e64 s[34:35], 0, v[1:2]
	v_not_b32_e32 v2, v2
	v_ashrrev_i32_e32 v2, 31, v2
	v_xor_b32_e32 v32, s35, v2
	v_xor_b32_e32 v2, s34, v2
	v_and_b32_e32 v24, v24, v32
	v_mov_b32_e32 v32, 24
	v_and_b32_e32 v25, v25, v2
	v_lshlrev_b32_sdwa v2, v32, v14 dst_sel:DWORD dst_unused:UNUSED_PAD src0_sel:DWORD src1_sel:BYTE_1
	v_cmp_gt_i64_e64 s[34:35], 0, v[1:2]
	v_not_b32_e32 v1, v2
	v_ashrrev_i32_e32 v1, 31, v1
	v_xor_b32_e32 v2, s35, v1
	v_xor_b32_e32 v1, s34, v1
	; wave barrier
	ds_read_b32 v22, v23 offset:32
	v_and_b32_e32 v1, v25, v1
	v_and_b32_e32 v2, v24, v2
	v_mbcnt_lo_u32_b32 v24, v1, 0
	v_mbcnt_hi_u32_b32 v24, v2, v24
	v_cmp_ne_u64_e64 s[34:35], 0, v[1:2]
	v_cmp_eq_u32_e64 s[36:37], 0, v24
	s_and_b64 s[36:37], s[34:35], s[36:37]
	; wave barrier
	s_and_saveexec_b64 s[34:35], s[36:37]
	s_cbranch_execz .LBB1_22
; %bb.21:
	v_bcnt_u32_b32 v1, v1, 0
	v_bcnt_u32_b32 v1, v2, v1
	s_waitcnt lgkmcnt(0)
	v_add_u32_e32 v1, v22, v1
	ds_write_b32 v23, v1 offset:32
.LBB1_22:
	s_or_b64 exec, exec, s[34:35]
	v_and_b32_sdwa v2, v10, v26 dst_sel:DWORD dst_unused:UNUSED_PAD src0_sel:BYTE_1 src1_sel:DWORD
	v_lshlrev_b16_sdwa v1, v3, v10 dst_sel:DWORD dst_unused:UNUSED_PAD src0_sel:DWORD src1_sel:BYTE_1
	v_add_co_u32_e64 v3, s[34:35], -1, v2
	v_addc_co_u32_e64 v26, s[34:35], 0, -1, s[34:35]
	v_cmp_ne_u32_e64 s[34:35], 0, v2
	v_xor_b32_e32 v2, s35, v26
	v_lshl_add_u32 v25, v1, 2, v9
	v_mov_b32_e32 v1, 0
	v_and_b32_e32 v26, exec_hi, v2
	v_lshlrev_b32_sdwa v2, v4, v10 dst_sel:DWORD dst_unused:UNUSED_PAD src0_sel:DWORD src1_sel:BYTE_1
	v_xor_b32_e32 v3, s34, v3
	v_cmp_gt_i64_e64 s[34:35], 0, v[1:2]
	v_not_b32_e32 v2, v2
	v_ashrrev_i32_e32 v2, 31, v2
	v_and_b32_e32 v3, exec_lo, v3
	v_xor_b32_e32 v4, s35, v2
	v_xor_b32_e32 v2, s34, v2
	v_and_b32_e32 v3, v3, v2
	v_lshlrev_b32_sdwa v2, v27, v10 dst_sel:DWORD dst_unused:UNUSED_PAD src0_sel:DWORD src1_sel:BYTE_1
	v_cmp_gt_i64_e64 s[34:35], 0, v[1:2]
	v_not_b32_e32 v2, v2
	v_ashrrev_i32_e32 v2, 31, v2
	v_and_b32_e32 v4, v26, v4
	v_xor_b32_e32 v26, s35, v2
	v_xor_b32_e32 v2, s34, v2
	v_and_b32_e32 v3, v3, v2
	v_lshlrev_b32_sdwa v2, v28, v10 dst_sel:DWORD dst_unused:UNUSED_PAD src0_sel:DWORD src1_sel:BYTE_1
	v_cmp_gt_i64_e64 s[34:35], 0, v[1:2]
	v_not_b32_e32 v2, v2
	v_ashrrev_i32_e32 v2, 31, v2
	v_and_b32_e32 v4, v4, v26
	;; [unrolled: 8-line block ×5, first 2 shown]
	v_xor_b32_e32 v26, s35, v2
	v_xor_b32_e32 v2, s34, v2
	v_and_b32_e32 v3, v3, v2
	v_lshlrev_b32_sdwa v2, v32, v10 dst_sel:DWORD dst_unused:UNUSED_PAD src0_sel:DWORD src1_sel:BYTE_1
	v_cmp_gt_i64_e64 s[34:35], 0, v[1:2]
	v_not_b32_e32 v1, v2
	v_ashrrev_i32_e32 v1, 31, v1
	v_xor_b32_e32 v2, s35, v1
	v_xor_b32_e32 v1, s34, v1
	; wave barrier
	ds_read_b32 v9, v25 offset:32
	v_and_b32_e32 v4, v4, v26
	v_and_b32_e32 v1, v3, v1
	;; [unrolled: 1-line block ×3, first 2 shown]
	v_mbcnt_lo_u32_b32 v3, v1, 0
	v_mbcnt_hi_u32_b32 v26, v2, v3
	v_cmp_ne_u64_e64 s[34:35], 0, v[1:2]
	v_cmp_eq_u32_e64 s[36:37], 0, v26
	s_and_b64 s[36:37], s[34:35], s[36:37]
	; wave barrier
	s_and_saveexec_b64 s[34:35], s[36:37]
	s_cbranch_execz .LBB1_24
; %bb.23:
	v_bcnt_u32_b32 v1, v1, 0
	v_bcnt_u32_b32 v1, v2, v1
	s_waitcnt lgkmcnt(0)
	v_add_u32_e32 v1, v9, v1
	ds_write_b32 v25, v1 offset:32
.LBB1_24:
	s_or_b64 exec, exec, s[34:35]
	; wave barrier
	s_waitcnt lgkmcnt(0)
	s_barrier
	ds_read2_b64 v[1:4], v8 offset0:4 offset1:5
	s_waitcnt lgkmcnt(0)
	v_add_u32_e32 v27, v2, v1
	v_add3_u32 v4, v27, v3, v4
	s_nop 1
	v_mov_b32_dpp v27, v4 row_shr:1 row_mask:0xf bank_mask:0xf
	v_cndmask_b32_e64 v27, v27, 0, s[16:17]
	v_add_u32_e32 v4, v27, v4
	s_nop 1
	v_mov_b32_dpp v27, v4 row_shr:2 row_mask:0xf bank_mask:0xf
	v_cndmask_b32_e64 v27, 0, v27, s[18:19]
	v_add_u32_e32 v4, v4, v27
	;; [unrolled: 4-line block ×4, first 2 shown]
	s_nop 1
	v_mov_b32_dpp v27, v4 row_bcast:15 row_mask:0xf bank_mask:0xf
	v_cndmask_b32_e64 v27, v27, 0, s[4:5]
	v_add_u32_e32 v4, v4, v27
	s_nop 1
	v_mov_b32_dpp v27, v4 row_bcast:31 row_mask:0xf bank_mask:0xf
	v_cndmask_b32_e64 v27, 0, v27, s[26:27]
	v_add_u32_e32 v4, v4, v27
	s_and_saveexec_b64 s[4:5], s[30:31]
; %bb.25:
	ds_write_b32 v11, v4
; %bb.26:
	s_or_b64 exec, exec, s[4:5]
	s_waitcnt lgkmcnt(0)
	s_barrier
	s_and_saveexec_b64 s[4:5], s[20:21]
	s_cbranch_execz .LBB1_28
; %bb.27:
	ds_read_b32 v11, v12
	s_waitcnt lgkmcnt(0)
	s_nop 0
	v_mov_b32_dpp v27, v11 row_shr:1 row_mask:0xf bank_mask:0xf
	v_cndmask_b32_e64 v27, v27, 0, s[14:15]
	v_add_u32_e32 v11, v27, v11
	s_nop 1
	v_mov_b32_dpp v27, v11 row_shr:2 row_mask:0xf bank_mask:0xf
	v_cndmask_b32_e64 v27, 0, v27, s[12:13]
	v_add_u32_e32 v11, v11, v27
	;; [unrolled: 4-line block ×3, first 2 shown]
	ds_write_b32 v12, v11
.LBB1_28:
	s_or_b64 exec, exec, s[4:5]
	v_mov_b32_e32 v11, 0
	s_waitcnt lgkmcnt(0)
	s_barrier
	s_and_saveexec_b64 s[4:5], s[28:29]
; %bb.29:
	ds_read_b32 v11, v13
; %bb.30:
	s_or_b64 exec, exec, s[4:5]
	s_waitcnt lgkmcnt(0)
	v_add_u32_e32 v4, v11, v4
	ds_bpermute_b32 v4, v15, v4
	v_lshlrev_b32_e32 v5, 1, v5
	s_waitcnt lgkmcnt(0)
	v_cndmask_b32_e64 v4, v4, v11, s[10:11]
	v_cndmask_b32_e64 v11, v4, 0, s[0:1]
	v_add_u32_e32 v12, v11, v1
	v_add_u32_e32 v1, v12, v2
	;; [unrolled: 1-line block ×3, first 2 shown]
	ds_write2_b64 v8, v[11:12], v[1:2] offset0:4 offset1:5
	s_waitcnt lgkmcnt(0)
	s_barrier
	ds_read_b32 v1, v25 offset:32
	ds_read_b32 v2, v23 offset:32
	ds_read_b32 v3, v20 offset:32
	ds_read_b32 v4, v18 offset:32
	s_waitcnt lgkmcnt(0)
	s_barrier
	v_lshlrev_b32_e32 v3, 1, v3
	v_lshl_add_u32 v4, v4, 1, v5
	ds_write_b16 v4, v17
	v_lshlrev_b32_e32 v4, 1, v21
	v_lshlrev_b32_e32 v5, 1, v19
	v_add3_u32 v3, v4, v5, v3
	ds_write_b16 v3, v16
	v_lshlrev_b32_e32 v3, 1, v24
	v_lshlrev_b32_e32 v4, 1, v22
	;; [unrolled: 1-line block ×3, first 2 shown]
	v_add3_u32 v2, v3, v4, v2
	ds_write_b16 v2, v14
	v_lshlrev_b32_e32 v2, 1, v26
	v_lshlrev_b32_e32 v3, 1, v9
	;; [unrolled: 1-line block ×3, first 2 shown]
	v_add3_u32 v1, v2, v3, v1
	v_lshlrev_b32_e32 v3, 1, v7
	ds_write_b16 v1, v10
	s_waitcnt lgkmcnt(0)
	s_barrier
	ds_read_b64 v[1:2], v3
	s_waitcnt lgkmcnt(0)
	s_barrier
	s_and_saveexec_b64 s[4:5], vcc
; %bb.31:
	v_sub_u32_e32 v4, v3, v7
	v_mov_b32_e32 v5, 0x800
	ds_write2st64_b32 v4, v5, v5 offset0:8 offset1:16
; %bb.32:
	s_or_b64 exec, exec, s[4:5]
	v_lshrrev_b32_e32 v4, 16, v2
	v_mad_i32_i24 v3, v0, -6, v3
	v_cmp_ne_u16_e64 s[4:5], v2, v4
	s_waitcnt lgkmcnt(0)
	s_barrier
	ds_write_b16 v3, v4
	s_and_saveexec_b64 s[8:9], s[4:5]
	s_cbranch_execnz .LBB1_46
; %bb.33:
	s_or_b64 exec, exec, s[8:9]
	v_cmp_ne_u16_sdwa s[8:9], v1, v2 src0_sel:WORD_1 src1_sel:WORD_0
	s_and_saveexec_b64 s[4:5], s[8:9]
	s_cbranch_execnz .LBB1_47
.LBB1_34:
	s_or_b64 exec, exec, s[4:5]
	v_cmp_ne_u16_sdwa s[8:9], v1, v1 src0_sel:DWORD src1_sel:WORD_1
	s_and_saveexec_b64 s[4:5], s[8:9]
	s_cbranch_execz .LBB1_36
.LBB1_35:
	v_mov_b32_e32 v2, 2
	v_lshlrev_b32_sdwa v4, v2, v1 dst_sel:DWORD dst_unused:UNUSED_PAD src0_sel:DWORD src1_sel:WORD_0
	v_lshlrev_b32_sdwa v2, v2, v1 dst_sel:DWORD dst_unused:UNUSED_PAD src0_sel:DWORD src1_sel:WORD_1
	v_or_b32_e32 v5, 1, v7
	ds_write_b32 v2, v5 offset:2048
	ds_write_b32 v4, v5 offset:4096
.LBB1_36:
	s_or_b64 exec, exec, s[4:5]
	s_waitcnt lgkmcnt(0)
	s_barrier
	s_and_saveexec_b64 s[4:5], s[2:3]
	s_cbranch_execz .LBB1_39
; %bb.37:
	v_add_u32_e32 v2, -2, v3
	ds_read_u16 v2, v2
	s_waitcnt lgkmcnt(0)
	v_cmp_ne_u16_sdwa s[2:3], v2, v1 src0_sel:DWORD src1_sel:WORD_0
	s_and_b64 exec, exec, s[2:3]
	s_cbranch_execz .LBB1_39
; %bb.38:
	v_mov_b32_e32 v4, 2
	v_lshlrev_b32_sdwa v5, v4, v1 dst_sel:DWORD dst_unused:UNUSED_PAD src0_sel:DWORD src1_sel:WORD_0
	v_lshlrev_b32_sdwa v2, v4, v2 dst_sel:DWORD dst_unused:UNUSED_PAD src0_sel:DWORD src1_sel:WORD_0
	ds_write_b32 v5, v7 offset:2048
	ds_write_b32 v2, v7 offset:4096
.LBB1_39:
	s_or_b64 exec, exec, s[4:5]
	s_waitcnt lgkmcnt(0)
	s_barrier
	s_and_saveexec_b64 s[2:3], s[0:1]
; %bb.40:
	v_mov_b32_e32 v2, 2
	v_lshlrev_b32_sdwa v1, v2, v1 dst_sel:DWORD dst_unused:UNUSED_PAD src0_sel:DWORD src1_sel:WORD_0
	v_mov_b32_e32 v2, 0
	ds_write_b32 v1, v2 offset:2048
; %bb.41:
	s_or_b64 exec, exec, s[2:3]
	s_waitcnt lgkmcnt(0)
	s_barrier
	s_and_saveexec_b64 s[0:1], vcc
	s_cbranch_execz .LBB1_43
; %bb.42:
	v_add_u32_e32 v1, v3, v6
	ds_read2st64_b32 v[1:2], v1 offset0:8 offset1:16
	ds_read_u16 v3, v6 offset:8224
	s_waitcnt lgkmcnt(1)
	v_sub_u32_e32 v1, v2, v1
	s_waitcnt lgkmcnt(0)
	v_add_u16_e32 v1, v3, v1
	ds_write_b16 v6, v1 offset:8224
.LBB1_43:
	s_or_b64 exec, exec, s[0:1]
	s_waitcnt lgkmcnt(0)
	s_barrier
	s_and_saveexec_b64 s[0:1], vcc
	s_cbranch_execz .LBB1_45
; %bb.44:
	v_lshl_or_b32 v0, s6, 9, v0
	v_mov_b32_e32 v1, 0
	ds_read_u16 v3, v6 offset:8224
	v_lshlrev_b64 v[0:1], 1, v[0:1]
	v_mov_b32_e32 v2, s39
	v_add_co_u32_e32 v0, vcc, s38, v0
	v_addc_co_u32_e32 v1, vcc, v2, v1, vcc
	s_waitcnt lgkmcnt(0)
	global_store_short v[0:1], v3, off
.LBB1_45:
	s_endpgm
.LBB1_46:
	v_mov_b32_e32 v5, 2
	v_lshlrev_b32_sdwa v8, v5, v2 dst_sel:DWORD dst_unused:UNUSED_PAD src0_sel:DWORD src1_sel:WORD_0
	v_lshlrev_b32_sdwa v4, v5, v4 dst_sel:DWORD dst_unused:UNUSED_PAD src0_sel:DWORD src1_sel:WORD_0
	v_or_b32_e32 v5, 3, v7
	ds_write_b32 v4, v5 offset:2048
	ds_write_b32 v8, v5 offset:4096
	s_or_b64 exec, exec, s[8:9]
	v_cmp_ne_u16_sdwa s[8:9], v1, v2 src0_sel:WORD_1 src1_sel:WORD_0
	s_and_saveexec_b64 s[4:5], s[8:9]
	s_cbranch_execz .LBB1_34
.LBB1_47:
	v_mov_b32_e32 v4, 2
	v_lshlrev_b32_sdwa v5, v4, v1 dst_sel:DWORD dst_unused:UNUSED_PAD src0_sel:DWORD src1_sel:WORD_1
	v_lshlrev_b32_sdwa v2, v4, v2 dst_sel:DWORD dst_unused:UNUSED_PAD src0_sel:DWORD src1_sel:WORD_0
	v_or_b32_e32 v4, 2, v7
	ds_write_b32 v2, v4 offset:2048
	ds_write_b32 v5, v4 offset:4096
	s_or_b64 exec, exec, s[4:5]
	v_cmp_ne_u16_sdwa s[8:9], v1, v1 src0_sel:DWORD src1_sel:WORD_1
	s_and_saveexec_b64 s[4:5], s[8:9]
	s_cbranch_execnz .LBB1_35
	s_branch .LBB1_36
	.section	.rodata,"a",@progbits
	.p2align	6, 0x0
	.amdhsa_kernel _Z16histogram_kernelILj512ELj4ELj512ELN6hipcub23BlockHistogramAlgorithmE1EtEvPT3_S3_
		.amdhsa_group_segment_fixed_size 9248
		.amdhsa_private_segment_fixed_size 0
		.amdhsa_kernarg_size 272
		.amdhsa_user_sgpr_count 6
		.amdhsa_user_sgpr_private_segment_buffer 1
		.amdhsa_user_sgpr_dispatch_ptr 0
		.amdhsa_user_sgpr_queue_ptr 0
		.amdhsa_user_sgpr_kernarg_segment_ptr 1
		.amdhsa_user_sgpr_dispatch_id 0
		.amdhsa_user_sgpr_flat_scratch_init 0
		.amdhsa_user_sgpr_private_segment_size 0
		.amdhsa_uses_dynamic_stack 0
		.amdhsa_system_sgpr_private_segment_wavefront_offset 0
		.amdhsa_system_sgpr_workgroup_id_x 1
		.amdhsa_system_sgpr_workgroup_id_y 0
		.amdhsa_system_sgpr_workgroup_id_z 0
		.amdhsa_system_sgpr_workgroup_info 0
		.amdhsa_system_vgpr_workitem_id 2
		.amdhsa_next_free_vgpr 33
		.amdhsa_next_free_sgpr 40
		.amdhsa_reserve_vcc 1
		.amdhsa_reserve_flat_scratch 0
		.amdhsa_float_round_mode_32 0
		.amdhsa_float_round_mode_16_64 0
		.amdhsa_float_denorm_mode_32 3
		.amdhsa_float_denorm_mode_16_64 3
		.amdhsa_dx10_clamp 1
		.amdhsa_ieee_mode 1
		.amdhsa_fp16_overflow 0
		.amdhsa_exception_fp_ieee_invalid_op 0
		.amdhsa_exception_fp_denorm_src 0
		.amdhsa_exception_fp_ieee_div_zero 0
		.amdhsa_exception_fp_ieee_overflow 0
		.amdhsa_exception_fp_ieee_underflow 0
		.amdhsa_exception_fp_ieee_inexact 0
		.amdhsa_exception_int_div_zero 0
	.end_amdhsa_kernel
	.section	.text._Z16histogram_kernelILj512ELj4ELj512ELN6hipcub23BlockHistogramAlgorithmE1EtEvPT3_S3_,"axG",@progbits,_Z16histogram_kernelILj512ELj4ELj512ELN6hipcub23BlockHistogramAlgorithmE1EtEvPT3_S3_,comdat
.Lfunc_end1:
	.size	_Z16histogram_kernelILj512ELj4ELj512ELN6hipcub23BlockHistogramAlgorithmE1EtEvPT3_S3_, .Lfunc_end1-_Z16histogram_kernelILj512ELj4ELj512ELN6hipcub23BlockHistogramAlgorithmE1EtEvPT3_S3_
                                        ; -- End function
	.set _Z16histogram_kernelILj512ELj4ELj512ELN6hipcub23BlockHistogramAlgorithmE1EtEvPT3_S3_.num_vgpr, 33
	.set _Z16histogram_kernelILj512ELj4ELj512ELN6hipcub23BlockHistogramAlgorithmE1EtEvPT3_S3_.num_agpr, 0
	.set _Z16histogram_kernelILj512ELj4ELj512ELN6hipcub23BlockHistogramAlgorithmE1EtEvPT3_S3_.numbered_sgpr, 40
	.set _Z16histogram_kernelILj512ELj4ELj512ELN6hipcub23BlockHistogramAlgorithmE1EtEvPT3_S3_.num_named_barrier, 0
	.set _Z16histogram_kernelILj512ELj4ELj512ELN6hipcub23BlockHistogramAlgorithmE1EtEvPT3_S3_.private_seg_size, 0
	.set _Z16histogram_kernelILj512ELj4ELj512ELN6hipcub23BlockHistogramAlgorithmE1EtEvPT3_S3_.uses_vcc, 1
	.set _Z16histogram_kernelILj512ELj4ELj512ELN6hipcub23BlockHistogramAlgorithmE1EtEvPT3_S3_.uses_flat_scratch, 0
	.set _Z16histogram_kernelILj512ELj4ELj512ELN6hipcub23BlockHistogramAlgorithmE1EtEvPT3_S3_.has_dyn_sized_stack, 0
	.set _Z16histogram_kernelILj512ELj4ELj512ELN6hipcub23BlockHistogramAlgorithmE1EtEvPT3_S3_.has_recursion, 0
	.set _Z16histogram_kernelILj512ELj4ELj512ELN6hipcub23BlockHistogramAlgorithmE1EtEvPT3_S3_.has_indirect_call, 0
	.section	.AMDGPU.csdata,"",@progbits
; Kernel info:
; codeLenInByte = 6124
; TotalNumSgprs: 44
; NumVgprs: 33
; ScratchSize: 0
; MemoryBound: 0
; FloatMode: 240
; IeeeMode: 1
; LDSByteSize: 9248 bytes/workgroup (compile time only)
; SGPRBlocks: 5
; VGPRBlocks: 8
; NumSGPRsForWavesPerEU: 44
; NumVGPRsForWavesPerEU: 33
; Occupancy: 7
; WaveLimiterHint : 0
; COMPUTE_PGM_RSRC2:SCRATCH_EN: 0
; COMPUTE_PGM_RSRC2:USER_SGPR: 6
; COMPUTE_PGM_RSRC2:TRAP_HANDLER: 0
; COMPUTE_PGM_RSRC2:TGID_X_EN: 1
; COMPUTE_PGM_RSRC2:TGID_Y_EN: 0
; COMPUTE_PGM_RSRC2:TGID_Z_EN: 0
; COMPUTE_PGM_RSRC2:TIDIG_COMP_CNT: 2
	.section	.text._Z16histogram_kernelILj256ELj3ELj512ELN6hipcub23BlockHistogramAlgorithmE1EtEvPT3_S3_,"axG",@progbits,_Z16histogram_kernelILj256ELj3ELj512ELN6hipcub23BlockHistogramAlgorithmE1EtEvPT3_S3_,comdat
	.protected	_Z16histogram_kernelILj256ELj3ELj512ELN6hipcub23BlockHistogramAlgorithmE1EtEvPT3_S3_ ; -- Begin function _Z16histogram_kernelILj256ELj3ELj512ELN6hipcub23BlockHistogramAlgorithmE1EtEvPT3_S3_
	.globl	_Z16histogram_kernelILj256ELj3ELj512ELN6hipcub23BlockHistogramAlgorithmE1EtEvPT3_S3_
	.p2align	8
	.type	_Z16histogram_kernelILj256ELj3ELj512ELN6hipcub23BlockHistogramAlgorithmE1EtEvPT3_S3_,@function
_Z16histogram_kernelILj256ELj3ELj512ELN6hipcub23BlockHistogramAlgorithmE1EtEvPT3_S3_: ; @_Z16histogram_kernelILj256ELj3ELj512ELN6hipcub23BlockHistogramAlgorithmE1EtEvPT3_S3_
; %bb.0:
	s_load_dwordx4 s[36:39], s[4:5], 0x0
	v_lshl_or_b32 v3, s6, 8, v0
	v_lshl_add_u32 v3, v3, 1, v3
	v_mov_b32_e32 v4, 0
	v_lshlrev_b64 v[5:6], 1, v[3:4]
	s_waitcnt lgkmcnt(0)
	v_mov_b32_e32 v7, s37
	v_add_co_u32_e32 v8, vcc, s36, v5
	v_addc_co_u32_e32 v9, vcc, v7, v6, vcc
	v_add_u32_e32 v5, 1, v3
	v_mov_b32_e32 v6, v4
	v_lshlrev_b64 v[5:6], 1, v[5:6]
	v_add_u32_e32 v3, 2, v3
	v_add_co_u32_e32 v10, vcc, s36, v5
	v_addc_co_u32_e32 v11, vcc, v7, v6, vcc
	v_lshlrev_b64 v[5:6], 1, v[3:4]
	v_mov_b32_e32 v3, s37
	v_add_co_u32_e32 v12, vcc, s36, v5
	v_addc_co_u32_e32 v13, vcc, v3, v6, vcc
	global_load_ushort v3, v[8:9], off
	global_load_ushort v5, v[10:11], off
	;; [unrolled: 1-line block ×3, first 2 shown]
	s_movk_i32 s0, 0x200
	v_cmp_gt_u32_e64 s[0:1], s0, v0
	v_lshlrev_b32_e32 v6, 1, v0
	s_and_saveexec_b64 s[2:3], s[0:1]
; %bb.1:
	ds_write_b16 v6, v4 offset:5120
; %bb.2:
	s_or_b64 exec, exec, s[2:3]
	s_movk_i32 s2, 0x100
	v_cmp_gt_u32_e32 vcc, s2, v0
	s_and_saveexec_b64 s[2:3], vcc
; %bb.3:
	v_mov_b32_e32 v4, 0
	ds_write_b16 v6, v4 offset:5632
; %bb.4:
	s_or_b64 exec, exec, s[2:3]
	v_mbcnt_lo_u32_b32 v4, -1, 0
	v_mbcnt_hi_u32_b32 v12, -1, v4
	v_lshrrev_b32_e32 v11, 6, v0
	v_mul_u32_u24_e32 v4, 0xc0, v11
	v_mul_u32_u24_e32 v8, 3, v12
	v_add_lshl_u32 v8, v8, v4, 1
	s_waitcnt vmcnt(0) lgkmcnt(0)
	s_barrier
	ds_write_b16 v8, v3
	ds_write_b16 v8, v5 offset:2
	ds_write_b16 v8, v7 offset:4
	v_add_lshl_u32 v3, v12, v4, 1
	; wave barrier
	ds_read_u16 v10, v3
	ds_read_u16 v9, v3 offset:128
	ds_read_u16 v5, v3 offset:256
	s_waitcnt lgkmcnt(0)
	s_barrier
	; wave barrier
	s_barrier
	s_load_dword s3, s[4:5], 0x1c
	s_mov_b32 s2, 0
	v_lshlrev_b32_e32 v7, 4, v0
	v_mov_b32_e32 v4, 2
	s_waitcnt lgkmcnt(0)
	s_lshr_b32 s4, s3, 16
	s_and_b32 s3, s3, 0xffff
	v_mad_u32_u24 v1, v2, s4, v1
	v_mad_u64_u32 v[1:2], s[4:5], v1, s3, v[0:1]
	s_mov_b32 s5, s2
	s_mov_b32 s3, s2
	;; [unrolled: 1-line block ×3, first 2 shown]
	v_mov_b32_e32 v2, s2
	v_mov_b32_e32 v14, s5
	;; [unrolled: 1-line block ×4, first 2 shown]
	v_lshrrev_b32_e32 v1, 4, v1
	ds_write2_b64 v7, v[2:3], v[13:14] offset0:2 offset1:3
	v_lshlrev_b16_sdwa v2, v4, v10 dst_sel:DWORD dst_unused:UNUSED_PAD src0_sel:DWORD src1_sel:BYTE_0
	v_and_b32_e32 v8, 0xffffffc, v1
	v_lshl_add_u32 v16, v2, 2, v8
	v_and_b32_e32 v2, 1, v10
	v_add_co_u32_e64 v3, s[2:3], -1, v2
	v_addc_co_u32_e64 v13, s[2:3], 0, -1, s[2:3]
	v_cmp_ne_u32_e64 s[2:3], 0, v2
	v_xor_b32_e32 v2, s3, v13
	v_mov_b32_e32 v1, 0
	v_and_b32_e32 v13, exec_hi, v2
	v_lshlrev_b32_e32 v2, 30, v10
	v_xor_b32_e32 v3, s2, v3
	v_cmp_gt_i64_e64 s[2:3], 0, v[1:2]
	v_not_b32_e32 v2, v2
	v_ashrrev_i32_e32 v2, 31, v2
	v_and_b32_e32 v3, exec_lo, v3
	v_xor_b32_e32 v14, s3, v2
	v_xor_b32_e32 v2, s2, v2
	v_and_b32_e32 v3, v3, v2
	v_lshlrev_b32_e32 v2, 29, v10
	v_cmp_gt_i64_e64 s[2:3], 0, v[1:2]
	v_not_b32_e32 v2, v2
	v_ashrrev_i32_e32 v2, 31, v2
	v_and_b32_e32 v13, v13, v14
	v_xor_b32_e32 v14, s3, v2
	v_xor_b32_e32 v2, s2, v2
	v_and_b32_e32 v3, v3, v2
	v_lshlrev_b32_e32 v2, 28, v10
	v_cmp_gt_i64_e64 s[2:3], 0, v[1:2]
	v_not_b32_e32 v2, v2
	v_ashrrev_i32_e32 v2, 31, v2
	v_and_b32_e32 v13, v13, v14
	;; [unrolled: 8-line block ×5, first 2 shown]
	v_xor_b32_e32 v14, s3, v2
	v_xor_b32_e32 v2, s2, v2
	v_and_b32_e32 v13, v13, v14
	v_and_b32_e32 v14, v3, v2
	v_lshlrev_b32_e32 v2, 24, v10
	v_cmp_gt_i64_e64 s[2:3], 0, v[1:2]
	v_not_b32_e32 v2, v2
	v_ashrrev_i32_e32 v2, 31, v2
	v_xor_b32_e32 v3, s3, v2
	v_xor_b32_e32 v2, s2, v2
	v_and_b32_e32 v2, v14, v2
	v_and_b32_e32 v3, v13, v3
	v_mbcnt_lo_u32_b32 v13, v2, 0
	v_mbcnt_hi_u32_b32 v17, v3, v13
	v_cmp_ne_u64_e64 s[2:3], 0, v[2:3]
	v_cmp_eq_u32_e64 s[4:5], 0, v17
	s_and_b64 s[4:5], s[2:3], s[4:5]
	s_waitcnt lgkmcnt(0)
	s_barrier
	; wave barrier
	s_and_saveexec_b64 s[2:3], s[4:5]
; %bb.5:
	v_bcnt_u32_b32 v2, v2, 0
	v_bcnt_u32_b32 v2, v3, v2
	ds_write_b32 v16, v2 offset:16
; %bb.6:
	s_or_b64 exec, exec, s[2:3]
	v_lshlrev_b16_sdwa v2, v4, v9 dst_sel:DWORD dst_unused:UNUSED_PAD src0_sel:DWORD src1_sel:BYTE_0
	v_lshl_add_u32 v19, v2, 2, v8
	v_and_b32_e32 v2, 1, v9
	v_add_co_u32_e64 v3, s[2:3], -1, v2
	v_addc_co_u32_e64 v4, s[2:3], 0, -1, s[2:3]
	v_cmp_ne_u32_e64 s[2:3], 0, v2
	v_xor_b32_e32 v2, s3, v4
	v_and_b32_e32 v4, exec_hi, v2
	v_lshlrev_b32_e32 v2, 30, v9
	v_xor_b32_e32 v3, s2, v3
	v_cmp_gt_i64_e64 s[2:3], 0, v[1:2]
	v_not_b32_e32 v2, v2
	v_ashrrev_i32_e32 v2, 31, v2
	v_and_b32_e32 v3, exec_lo, v3
	v_xor_b32_e32 v13, s3, v2
	v_xor_b32_e32 v2, s2, v2
	v_and_b32_e32 v3, v3, v2
	v_lshlrev_b32_e32 v2, 29, v9
	v_cmp_gt_i64_e64 s[2:3], 0, v[1:2]
	v_not_b32_e32 v2, v2
	v_ashrrev_i32_e32 v2, 31, v2
	v_and_b32_e32 v4, v4, v13
	v_xor_b32_e32 v13, s3, v2
	v_xor_b32_e32 v2, s2, v2
	v_and_b32_e32 v3, v3, v2
	v_lshlrev_b32_e32 v2, 28, v9
	v_cmp_gt_i64_e64 s[2:3], 0, v[1:2]
	v_not_b32_e32 v2, v2
	v_ashrrev_i32_e32 v2, 31, v2
	v_and_b32_e32 v4, v4, v13
	;; [unrolled: 8-line block ×5, first 2 shown]
	v_xor_b32_e32 v13, s3, v2
	v_xor_b32_e32 v2, s2, v2
	v_and_b32_e32 v3, v3, v2
	v_lshlrev_b32_e32 v2, 24, v9
	v_cmp_gt_i64_e64 s[2:3], 0, v[1:2]
	v_not_b32_e32 v1, v2
	v_ashrrev_i32_e32 v1, 31, v1
	v_xor_b32_e32 v2, s3, v1
	v_xor_b32_e32 v1, s2, v1
	; wave barrier
	ds_read_b32 v18, v19 offset:16
	v_and_b32_e32 v4, v4, v13
	v_and_b32_e32 v1, v3, v1
	;; [unrolled: 1-line block ×3, first 2 shown]
	v_mbcnt_lo_u32_b32 v3, v1, 0
	v_mbcnt_hi_u32_b32 v20, v2, v3
	v_cmp_ne_u64_e64 s[2:3], 0, v[1:2]
	v_cmp_eq_u32_e64 s[4:5], 0, v20
	s_and_b64 s[4:5], s[2:3], s[4:5]
	; wave barrier
	s_and_saveexec_b64 s[2:3], s[4:5]
	s_cbranch_execz .LBB2_8
; %bb.7:
	v_bcnt_u32_b32 v1, v1, 0
	v_bcnt_u32_b32 v1, v2, v1
	s_waitcnt lgkmcnt(0)
	v_add_u32_e32 v1, v18, v1
	ds_write_b32 v19, v1 offset:16
.LBB2_8:
	s_or_b64 exec, exec, s[2:3]
	v_and_b32_e32 v2, 1, v5
	v_add_co_u32_e64 v3, s[2:3], -1, v2
	v_addc_co_u32_e64 v4, s[2:3], 0, -1, s[2:3]
	v_mov_b32_e32 v1, 2
	v_cmp_ne_u32_e64 s[2:3], 0, v2
	v_lshlrev_b16_sdwa v1, v1, v5 dst_sel:DWORD dst_unused:UNUSED_PAD src0_sel:DWORD src1_sel:BYTE_0
	v_xor_b32_e32 v2, s3, v4
	v_lshl_add_u32 v22, v1, 2, v8
	v_mov_b32_e32 v1, 0
	v_and_b32_e32 v4, exec_hi, v2
	v_lshlrev_b32_e32 v2, 30, v5
	v_xor_b32_e32 v3, s2, v3
	v_cmp_gt_i64_e64 s[2:3], 0, v[1:2]
	v_not_b32_e32 v2, v2
	v_ashrrev_i32_e32 v2, 31, v2
	v_and_b32_e32 v3, exec_lo, v3
	v_xor_b32_e32 v13, s3, v2
	v_xor_b32_e32 v2, s2, v2
	v_and_b32_e32 v3, v3, v2
	v_lshlrev_b32_e32 v2, 29, v5
	v_cmp_gt_i64_e64 s[2:3], 0, v[1:2]
	v_not_b32_e32 v2, v2
	v_ashrrev_i32_e32 v2, 31, v2
	v_and_b32_e32 v4, v4, v13
	v_xor_b32_e32 v13, s3, v2
	v_xor_b32_e32 v2, s2, v2
	v_and_b32_e32 v3, v3, v2
	v_lshlrev_b32_e32 v2, 28, v5
	v_cmp_gt_i64_e64 s[2:3], 0, v[1:2]
	v_not_b32_e32 v2, v2
	v_ashrrev_i32_e32 v2, 31, v2
	v_and_b32_e32 v4, v4, v13
	;; [unrolled: 8-line block ×5, first 2 shown]
	v_xor_b32_e32 v13, s3, v2
	v_xor_b32_e32 v2, s2, v2
	v_and_b32_e32 v3, v3, v2
	v_lshlrev_b32_e32 v2, 24, v5
	v_cmp_gt_i64_e64 s[2:3], 0, v[1:2]
	v_not_b32_e32 v1, v2
	v_ashrrev_i32_e32 v1, 31, v1
	v_xor_b32_e32 v2, s3, v1
	v_xor_b32_e32 v1, s2, v1
	; wave barrier
	ds_read_b32 v21, v22 offset:16
	v_and_b32_e32 v4, v4, v13
	v_and_b32_e32 v1, v3, v1
	;; [unrolled: 1-line block ×3, first 2 shown]
	v_mbcnt_lo_u32_b32 v3, v1, 0
	v_mbcnt_hi_u32_b32 v23, v2, v3
	v_cmp_ne_u64_e64 s[2:3], 0, v[1:2]
	v_cmp_eq_u32_e64 s[4:5], 0, v23
	v_and_b32_e32 v14, 0xc0, v0
	s_and_b64 s[4:5], s[2:3], s[4:5]
	; wave barrier
	s_and_saveexec_b64 s[2:3], s[4:5]
	s_cbranch_execz .LBB2_10
; %bb.9:
	v_bcnt_u32_b32 v1, v1, 0
	v_bcnt_u32_b32 v1, v2, v1
	s_waitcnt lgkmcnt(0)
	v_add_u32_e32 v1, v21, v1
	ds_write_b32 v22, v1 offset:16
.LBB2_10:
	s_or_b64 exec, exec, s[2:3]
	; wave barrier
	s_waitcnt lgkmcnt(0)
	s_barrier
	ds_read2_b64 v[1:4], v7 offset0:2 offset1:3
	v_and_b32_e32 v15, 16, v12
	v_cmp_eq_u32_e64 s[8:9], 0, v15
	v_or_b32_e32 v15, 63, v14
	v_cmp_eq_u32_e64 s[30:31], v0, v15
	s_waitcnt lgkmcnt(0)
	v_add_u32_e32 v15, v2, v1
	v_and_b32_e32 v13, 15, v12
	v_add3_u32 v4, v15, v3, v4
	v_cmp_eq_u32_e64 s[14:15], 0, v13
	v_cmp_lt_u32_e64 s[16:17], 1, v13
	v_mov_b32_dpp v15, v4 row_shr:1 row_mask:0xf bank_mask:0xf
	v_cndmask_b32_e64 v15, v15, 0, s[14:15]
	v_add_u32_e32 v4, v15, v4
	v_cmp_lt_u32_e64 s[20:21], 3, v13
	v_cmp_lt_u32_e64 s[22:23], 7, v13
	v_mov_b32_dpp v15, v4 row_shr:2 row_mask:0xf bank_mask:0xf
	v_cndmask_b32_e64 v15, 0, v15, s[16:17]
	v_add_u32_e32 v4, v4, v15
	v_cmp_lt_u32_e64 s[26:27], 31, v12
	v_lshlrev_b32_e32 v11, 2, v11
	v_mov_b32_dpp v15, v4 row_shr:4 row_mask:0xf bank_mask:0xf
	v_cndmask_b32_e64 v15, 0, v15, s[20:21]
	v_add_u32_e32 v4, v4, v15
	v_bfe_i32 v15, v12, 4, 1
	s_nop 0
	v_mov_b32_dpp v24, v4 row_shr:8 row_mask:0xf bank_mask:0xf
	v_cndmask_b32_e64 v13, 0, v24, s[22:23]
	v_add_u32_e32 v13, v4, v13
	s_nop 1
	v_mov_b32_dpp v4, v13 row_bcast:15 row_mask:0xf bank_mask:0xf
	v_and_b32_e32 v15, v15, v4
	v_add_u32_e32 v13, v13, v15
	v_mul_i32_i24_e32 v4, -12, v0
	s_nop 0
	v_mov_b32_dpp v15, v13 row_bcast:31 row_mask:0xf bank_mask:0xf
	v_cndmask_b32_e64 v15, 0, v15, s[26:27]
	v_add_u32_e32 v24, v13, v15
	s_and_saveexec_b64 s[2:3], s[30:31]
; %bb.11:
	ds_write_b32 v11, v24
; %bb.12:
	s_or_b64 exec, exec, s[2:3]
	v_and_b32_e32 v13, 3, v12
	v_cmp_gt_u32_e64 s[24:25], 4, v0
	v_cmp_eq_u32_e64 s[18:19], 0, v13
	v_cmp_lt_u32_e64 s[12:13], 1, v13
	v_add_u32_e32 v13, v7, v4
	s_waitcnt lgkmcnt(0)
	s_barrier
	s_and_saveexec_b64 s[2:3], s[24:25]
	s_cbranch_execz .LBB2_14
; %bb.13:
	ds_read_b32 v4, v13
	s_waitcnt lgkmcnt(0)
	s_nop 0
	v_mov_b32_dpp v15, v4 row_shr:1 row_mask:0xf bank_mask:0xf
	v_cndmask_b32_e64 v15, v15, 0, s[18:19]
	v_add_u32_e32 v4, v15, v4
	s_nop 1
	v_mov_b32_dpp v15, v4 row_shr:2 row_mask:0xf bank_mask:0xf
	v_cndmask_b32_e64 v15, 0, v15, s[12:13]
	v_add_u32_e32 v4, v4, v15
	ds_write_b32 v13, v4
.LBB2_14:
	s_or_b64 exec, exec, s[2:3]
	v_subrev_co_u32_e64 v15, s[10:11], 1, v12
	v_mul_u32_u24_e32 v25, 3, v14
	v_cmp_lt_u32_e64 s[28:29], 63, v0
	v_add_u32_e32 v14, -4, v11
	v_mov_b32_e32 v4, 0
	v_mov_b32_e32 v26, 0
	s_waitcnt lgkmcnt(0)
	s_barrier
	s_and_saveexec_b64 s[2:3], s[28:29]
; %bb.15:
	ds_read_b32 v26, v14
; %bb.16:
	s_or_b64 exec, exec, s[2:3]
	v_and_b32_e32 v27, 64, v12
	v_cmp_lt_i32_e64 s[2:3], v15, v27
	v_cndmask_b32_e64 v15, v15, v12, s[2:3]
	v_lshlrev_b32_e32 v15, 2, v15
	s_waitcnt lgkmcnt(0)
	v_add_u32_e32 v24, v26, v24
	ds_bpermute_b32 v24, v15, v24
	v_cmp_eq_u32_e64 s[2:3], 0, v0
	s_mov_b32 s34, 0
	s_mov_b32 s36, s34
	;; [unrolled: 1-line block ×3, first 2 shown]
	s_waitcnt lgkmcnt(0)
	v_cndmask_b32_e64 v24, v24, v26, s[10:11]
	v_cndmask_b32_e64 v26, v24, 0, s[2:3]
	v_add_u32_e32 v27, v26, v1
	v_add_u32_e32 v1, v27, v2
	;; [unrolled: 1-line block ×3, first 2 shown]
	v_add_lshl_u32 v3, v12, v25, 1
	ds_write2_b64 v7, v[26:27], v[1:2] offset0:2 offset1:3
	s_waitcnt lgkmcnt(0)
	s_barrier
	ds_read_b32 v1, v16 offset:16
	ds_read_b32 v2, v19 offset:16
	;; [unrolled: 1-line block ×3, first 2 shown]
	v_lshlrev_b32_e32 v16, 1, v17
	s_waitcnt lgkmcnt(0)
	v_lshl_add_u32 v1, v1, 1, v16
	s_barrier
	ds_write_b16 v1, v10
	v_lshlrev_b32_e32 v1, 1, v20
	v_lshlrev_b32_e32 v10, 1, v18
	v_lshlrev_b32_e32 v2, 1, v2
	v_add3_u32 v1, v1, v10, v2
	ds_write_b16 v1, v9
	v_lshlrev_b32_e32 v1, 1, v23
	v_lshlrev_b32_e32 v2, 1, v21
	;; [unrolled: 1-line block ×3, first 2 shown]
	v_add3_u32 v1, v1, v2, v9
	ds_write_b16 v1, v5
	s_waitcnt lgkmcnt(0)
	s_barrier
	ds_read_u16 v12, v3
	ds_read_u16 v10, v3 offset:128
	ds_read_u16 v9, v3 offset:256
	s_mov_b32 s37, s34
	v_mov_b32_e32 v1, s34
	v_mov_b32_e32 v16, s36
	;; [unrolled: 1-line block ×4, first 2 shown]
	s_waitcnt lgkmcnt(0)
	s_barrier
	ds_write2_b64 v7, v[1:2], v[16:17] offset0:2 offset1:3
	v_mov_b32_e32 v17, 2
	v_lshlrev_b16_sdwa v1, v17, v12 dst_sel:DWORD dst_unused:UNUSED_PAD src0_sel:DWORD src1_sel:BYTE_1
	v_mov_b32_e32 v19, 1
	v_lshl_add_u32 v16, v1, 2, v8
	v_and_b32_sdwa v1, v12, v19 dst_sel:DWORD dst_unused:UNUSED_PAD src0_sel:BYTE_1 src1_sel:DWORD
	v_add_co_u32_e64 v2, s[34:35], -1, v1
	v_addc_co_u32_e64 v3, s[34:35], 0, -1, s[34:35]
	v_cmp_ne_u32_e64 s[34:35], 0, v1
	v_xor_b32_e32 v1, s35, v3
	v_mov_b32_e32 v3, 30
	v_lshlrev_b32_sdwa v5, v3, v12 dst_sel:DWORD dst_unused:UNUSED_PAD src0_sel:DWORD src1_sel:BYTE_1
	v_xor_b32_e32 v2, s34, v2
	v_cmp_gt_i64_e64 s[34:35], 0, v[4:5]
	v_not_b32_e32 v5, v5
	v_ashrrev_i32_e32 v5, 31, v5
	v_and_b32_e32 v2, exec_lo, v2
	v_xor_b32_e32 v18, s35, v5
	v_xor_b32_e32 v5, s34, v5
	v_mov_b32_e32 v20, 29
	v_and_b32_e32 v2, v2, v5
	v_lshlrev_b32_sdwa v5, v20, v12 dst_sel:DWORD dst_unused:UNUSED_PAD src0_sel:DWORD src1_sel:BYTE_1
	v_cmp_gt_i64_e64 s[34:35], 0, v[4:5]
	v_not_b32_e32 v5, v5
	v_and_b32_e32 v1, exec_hi, v1
	v_ashrrev_i32_e32 v5, 31, v5
	v_and_b32_e32 v1, v1, v18
	v_xor_b32_e32 v18, s35, v5
	v_xor_b32_e32 v5, s34, v5
	v_mov_b32_e32 v21, 28
	v_and_b32_e32 v2, v2, v5
	v_lshlrev_b32_sdwa v5, v21, v12 dst_sel:DWORD dst_unused:UNUSED_PAD src0_sel:DWORD src1_sel:BYTE_1
	v_cmp_gt_i64_e64 s[34:35], 0, v[4:5]
	v_not_b32_e32 v5, v5
	v_ashrrev_i32_e32 v5, 31, v5
	v_and_b32_e32 v1, v1, v18
	v_xor_b32_e32 v18, s35, v5
	v_xor_b32_e32 v5, s34, v5
	v_mov_b32_e32 v22, 27
	v_and_b32_e32 v2, v2, v5
	v_lshlrev_b32_sdwa v5, v22, v12 dst_sel:DWORD dst_unused:UNUSED_PAD src0_sel:DWORD src1_sel:BYTE_1
	v_cmp_gt_i64_e64 s[34:35], 0, v[4:5]
	v_not_b32_e32 v5, v5
	;; [unrolled: 9-line block ×4, first 2 shown]
	v_ashrrev_i32_e32 v5, 31, v5
	v_and_b32_e32 v1, v1, v18
	v_xor_b32_e32 v18, s35, v5
	v_xor_b32_e32 v5, s34, v5
	v_mov_b32_e32 v25, 24
	v_and_b32_e32 v1, v1, v18
	v_and_b32_e32 v18, v2, v5
	v_lshlrev_b32_sdwa v5, v25, v12 dst_sel:DWORD dst_unused:UNUSED_PAD src0_sel:DWORD src1_sel:BYTE_1
	v_cmp_gt_i64_e64 s[34:35], 0, v[4:5]
	v_not_b32_e32 v2, v5
	v_ashrrev_i32_e32 v2, 31, v2
	v_xor_b32_e32 v4, s35, v2
	v_xor_b32_e32 v5, s34, v2
	v_and_b32_e32 v2, v1, v4
	v_and_b32_e32 v1, v18, v5
	v_mbcnt_lo_u32_b32 v4, v1, 0
	v_mbcnt_hi_u32_b32 v5, v2, v4
	v_cmp_ne_u64_e64 s[34:35], 0, v[1:2]
	v_cmp_eq_u32_e64 s[36:37], 0, v5
	v_cmp_ne_u32_e64 s[4:5], 0, v0
	s_and_b64 s[36:37], s[34:35], s[36:37]
	s_waitcnt lgkmcnt(0)
	s_barrier
	; wave barrier
	s_and_saveexec_b64 s[34:35], s[36:37]
; %bb.17:
	v_bcnt_u32_b32 v1, v1, 0
	v_bcnt_u32_b32 v1, v2, v1
	ds_write_b32 v16, v1 offset:16
; %bb.18:
	s_or_b64 exec, exec, s[34:35]
	v_and_b32_sdwa v2, v10, v19 dst_sel:DWORD dst_unused:UNUSED_PAD src0_sel:BYTE_1 src1_sel:DWORD
	v_add_co_u32_e64 v4, s[34:35], -1, v2
	v_addc_co_u32_e64 v19, s[34:35], 0, -1, s[34:35]
	v_cmp_ne_u32_e64 s[34:35], 0, v2
	v_lshlrev_b16_sdwa v1, v17, v10 dst_sel:DWORD dst_unused:UNUSED_PAD src0_sel:DWORD src1_sel:BYTE_1
	v_xor_b32_e32 v2, s35, v19
	v_lshl_add_u32 v18, v1, 2, v8
	v_mov_b32_e32 v1, 0
	v_and_b32_e32 v19, exec_hi, v2
	v_lshlrev_b32_sdwa v2, v3, v10 dst_sel:DWORD dst_unused:UNUSED_PAD src0_sel:DWORD src1_sel:BYTE_1
	v_xor_b32_e32 v4, s34, v4
	v_cmp_gt_i64_e64 s[34:35], 0, v[1:2]
	v_not_b32_e32 v2, v2
	v_ashrrev_i32_e32 v2, 31, v2
	v_and_b32_e32 v4, exec_lo, v4
	v_xor_b32_e32 v3, s35, v2
	v_xor_b32_e32 v2, s34, v2
	v_and_b32_e32 v4, v4, v2
	v_lshlrev_b32_sdwa v2, v20, v10 dst_sel:DWORD dst_unused:UNUSED_PAD src0_sel:DWORD src1_sel:BYTE_1
	v_cmp_gt_i64_e64 s[34:35], 0, v[1:2]
	v_not_b32_e32 v2, v2
	v_ashrrev_i32_e32 v2, 31, v2
	v_and_b32_e32 v3, v19, v3
	v_xor_b32_e32 v19, s35, v2
	v_xor_b32_e32 v2, s34, v2
	v_and_b32_e32 v4, v4, v2
	v_lshlrev_b32_sdwa v2, v21, v10 dst_sel:DWORD dst_unused:UNUSED_PAD src0_sel:DWORD src1_sel:BYTE_1
	v_cmp_gt_i64_e64 s[34:35], 0, v[1:2]
	v_not_b32_e32 v2, v2
	v_ashrrev_i32_e32 v2, 31, v2
	v_and_b32_e32 v3, v3, v19
	;; [unrolled: 8-line block ×6, first 2 shown]
	v_xor_b32_e32 v19, s35, v2
	v_xor_b32_e32 v2, s34, v2
	; wave barrier
	ds_read_b32 v17, v18 offset:16
	v_and_b32_e32 v2, v4, v2
	v_and_b32_e32 v3, v3, v19
	v_mbcnt_lo_u32_b32 v4, v2, 0
	v_mbcnt_hi_u32_b32 v19, v3, v4
	v_cmp_ne_u64_e64 s[34:35], 0, v[2:3]
	v_cmp_eq_u32_e64 s[36:37], 0, v19
	s_and_b64 s[36:37], s[34:35], s[36:37]
	; wave barrier
	s_and_saveexec_b64 s[34:35], s[36:37]
	s_cbranch_execz .LBB2_20
; %bb.19:
	v_bcnt_u32_b32 v2, v2, 0
	v_bcnt_u32_b32 v2, v3, v2
	s_waitcnt lgkmcnt(0)
	v_add_u32_e32 v2, v17, v2
	ds_write_b32 v18, v2 offset:16
.LBB2_20:
	s_or_b64 exec, exec, s[34:35]
	v_mov_b32_e32 v2, 2
	v_lshlrev_b16_sdwa v2, v2, v9 dst_sel:DWORD dst_unused:UNUSED_PAD src0_sel:DWORD src1_sel:BYTE_1
	v_lshl_add_u32 v20, v2, 2, v8
	v_mov_b32_e32 v2, 1
	v_and_b32_sdwa v2, v9, v2 dst_sel:DWORD dst_unused:UNUSED_PAD src0_sel:BYTE_1 src1_sel:DWORD
	v_add_co_u32_e64 v3, s[34:35], -1, v2
	v_addc_co_u32_e64 v4, s[34:35], 0, -1, s[34:35]
	v_cmp_ne_u32_e64 s[34:35], 0, v2
	v_xor_b32_e32 v2, s35, v4
	v_and_b32_e32 v4, exec_hi, v2
	v_mov_b32_e32 v2, 30
	v_lshlrev_b32_sdwa v2, v2, v9 dst_sel:DWORD dst_unused:UNUSED_PAD src0_sel:DWORD src1_sel:BYTE_1
	v_xor_b32_e32 v3, s34, v3
	v_cmp_gt_i64_e64 s[34:35], 0, v[1:2]
	v_not_b32_e32 v2, v2
	v_ashrrev_i32_e32 v2, 31, v2
	v_and_b32_e32 v3, exec_lo, v3
	v_xor_b32_e32 v21, s35, v2
	v_xor_b32_e32 v2, s34, v2
	v_and_b32_e32 v3, v3, v2
	v_mov_b32_e32 v2, 29
	v_lshlrev_b32_sdwa v2, v2, v9 dst_sel:DWORD dst_unused:UNUSED_PAD src0_sel:DWORD src1_sel:BYTE_1
	v_cmp_gt_i64_e64 s[34:35], 0, v[1:2]
	v_not_b32_e32 v2, v2
	v_ashrrev_i32_e32 v2, 31, v2
	v_and_b32_e32 v4, v4, v21
	v_xor_b32_e32 v21, s35, v2
	v_xor_b32_e32 v2, s34, v2
	v_and_b32_e32 v3, v3, v2
	v_mov_b32_e32 v2, 28
	v_lshlrev_b32_sdwa v2, v2, v9 dst_sel:DWORD dst_unused:UNUSED_PAD src0_sel:DWORD src1_sel:BYTE_1
	v_cmp_gt_i64_e64 s[34:35], 0, v[1:2]
	v_not_b32_e32 v2, v2
	v_ashrrev_i32_e32 v2, 31, v2
	v_and_b32_e32 v4, v4, v21
	;; [unrolled: 9-line block ×5, first 2 shown]
	v_xor_b32_e32 v21, s35, v2
	v_xor_b32_e32 v2, s34, v2
	v_and_b32_e32 v3, v3, v2
	v_mov_b32_e32 v2, 24
	v_lshlrev_b32_sdwa v2, v2, v9 dst_sel:DWORD dst_unused:UNUSED_PAD src0_sel:DWORD src1_sel:BYTE_1
	v_cmp_gt_i64_e64 s[34:35], 0, v[1:2]
	v_not_b32_e32 v1, v2
	v_ashrrev_i32_e32 v1, 31, v1
	v_xor_b32_e32 v2, s35, v1
	v_xor_b32_e32 v1, s34, v1
	; wave barrier
	ds_read_b32 v8, v20 offset:16
	v_and_b32_e32 v4, v4, v21
	v_and_b32_e32 v1, v3, v1
	;; [unrolled: 1-line block ×3, first 2 shown]
	v_mbcnt_lo_u32_b32 v3, v1, 0
	v_mbcnt_hi_u32_b32 v21, v2, v3
	v_cmp_ne_u64_e64 s[34:35], 0, v[1:2]
	v_cmp_eq_u32_e64 s[36:37], 0, v21
	s_and_b64 s[36:37], s[34:35], s[36:37]
	; wave barrier
	s_and_saveexec_b64 s[34:35], s[36:37]
	s_cbranch_execz .LBB2_22
; %bb.21:
	v_bcnt_u32_b32 v1, v1, 0
	v_bcnt_u32_b32 v1, v2, v1
	s_waitcnt lgkmcnt(0)
	v_add_u32_e32 v1, v8, v1
	ds_write_b32 v20, v1 offset:16
.LBB2_22:
	s_or_b64 exec, exec, s[34:35]
	; wave barrier
	s_waitcnt lgkmcnt(0)
	s_barrier
	ds_read2_b64 v[1:4], v7 offset0:2 offset1:3
	s_waitcnt lgkmcnt(0)
	v_add_u32_e32 v22, v2, v1
	v_add3_u32 v4, v22, v3, v4
	s_nop 1
	v_mov_b32_dpp v22, v4 row_shr:1 row_mask:0xf bank_mask:0xf
	v_cndmask_b32_e64 v22, v22, 0, s[14:15]
	v_add_u32_e32 v4, v22, v4
	s_nop 1
	v_mov_b32_dpp v22, v4 row_shr:2 row_mask:0xf bank_mask:0xf
	v_cndmask_b32_e64 v22, 0, v22, s[16:17]
	v_add_u32_e32 v4, v4, v22
	;; [unrolled: 4-line block ×4, first 2 shown]
	s_nop 1
	v_mov_b32_dpp v22, v4 row_bcast:15 row_mask:0xf bank_mask:0xf
	v_cndmask_b32_e64 v22, v22, 0, s[8:9]
	v_add_u32_e32 v4, v4, v22
	s_nop 1
	v_mov_b32_dpp v22, v4 row_bcast:31 row_mask:0xf bank_mask:0xf
	v_cndmask_b32_e64 v22, 0, v22, s[26:27]
	v_add_u32_e32 v4, v4, v22
	s_and_saveexec_b64 s[8:9], s[30:31]
; %bb.23:
	ds_write_b32 v11, v4
; %bb.24:
	s_or_b64 exec, exec, s[8:9]
	s_waitcnt lgkmcnt(0)
	s_barrier
	s_and_saveexec_b64 s[8:9], s[24:25]
	s_cbranch_execz .LBB2_26
; %bb.25:
	ds_read_b32 v11, v13
	s_waitcnt lgkmcnt(0)
	s_nop 0
	v_mov_b32_dpp v22, v11 row_shr:1 row_mask:0xf bank_mask:0xf
	v_cndmask_b32_e64 v22, v22, 0, s[18:19]
	v_add_u32_e32 v11, v22, v11
	s_nop 1
	v_mov_b32_dpp v22, v11 row_shr:2 row_mask:0xf bank_mask:0xf
	v_cndmask_b32_e64 v22, 0, v22, s[12:13]
	v_add_u32_e32 v11, v11, v22
	ds_write_b32 v13, v11
.LBB2_26:
	s_or_b64 exec, exec, s[8:9]
	v_mov_b32_e32 v11, 0
	s_waitcnt lgkmcnt(0)
	s_barrier
	s_and_saveexec_b64 s[8:9], s[28:29]
; %bb.27:
	ds_read_b32 v11, v14
; %bb.28:
	s_or_b64 exec, exec, s[8:9]
	s_waitcnt lgkmcnt(0)
	v_add_u32_e32 v4, v11, v4
	ds_bpermute_b32 v4, v15, v4
	s_waitcnt lgkmcnt(0)
	v_cndmask_b32_e64 v4, v4, v11, s[10:11]
	v_cndmask_b32_e64 v13, v4, 0, s[2:3]
	v_add_u32_e32 v14, v13, v1
	v_add_u32_e32 v1, v14, v2
	;; [unrolled: 1-line block ×3, first 2 shown]
	ds_write2_b64 v7, v[13:14], v[1:2] offset0:2 offset1:3
	s_waitcnt lgkmcnt(0)
	s_barrier
	ds_read_b32 v1, v20 offset:16
	ds_read_b32 v2, v18 offset:16
	;; [unrolled: 1-line block ×3, first 2 shown]
	v_lshlrev_b32_e32 v4, 1, v5
	s_waitcnt lgkmcnt(0)
	s_barrier
	v_lshl_add_u32 v3, v3, 1, v4
	ds_write_b16 v3, v12
	v_lshlrev_b32_e32 v3, 1, v19
	v_lshlrev_b32_e32 v4, 1, v17
	;; [unrolled: 1-line block ×3, first 2 shown]
	v_add3_u32 v2, v3, v4, v2
	ds_write_b16 v2, v10
	v_lshlrev_b32_e32 v2, 1, v21
	v_lshlrev_b32_e32 v3, 1, v8
	;; [unrolled: 1-line block ×3, first 2 shown]
	v_add3_u32 v1, v2, v3, v1
	v_mul_u32_u24_e32 v3, 3, v0
	v_lshlrev_b32_e32 v2, 1, v3
	ds_write_b16 v1, v9
	s_waitcnt lgkmcnt(0)
	s_barrier
	ds_read_u16 v1, v2
	ds_read_u16 v4, v2 offset:2
	ds_read_u16 v5, v2 offset:4
	s_waitcnt lgkmcnt(0)
	s_barrier
	s_and_saveexec_b64 s[8:9], s[0:1]
	s_cbranch_execz .LBB2_31
; %bb.29:
	v_sub_u32_e32 v8, v2, v6
	v_mov_b32_e32 v7, 0x300
	ds_write2st64_b32 v8, v7, v7 offset0:4 offset1:12
	s_and_b64 exec, exec, vcc
; %bb.30:
	v_sub_u32_e32 v8, 0, v6
	v_add_u32_e32 v8, v2, v8
	ds_write2st64_b32 v8, v7, v7 offset0:8 offset1:16
.LBB2_31:
	s_or_b64 exec, exec, s[8:9]
	v_lshlrev_b32_e32 v7, 2, v0
	v_sub_u32_e32 v2, v2, v7
	v_cmp_ne_u16_e64 s[8:9], v4, v5
	s_waitcnt lgkmcnt(0)
	s_barrier
	ds_write_b16 v2, v5
	s_and_saveexec_b64 s[10:11], s[8:9]
	s_cbranch_execz .LBB2_33
; %bb.32:
	v_mov_b32_e32 v7, 2
	v_lshlrev_b32_sdwa v8, v7, v4 dst_sel:DWORD dst_unused:UNUSED_PAD src0_sel:DWORD src1_sel:WORD_0
	v_lshlrev_b32_sdwa v5, v7, v5 dst_sel:DWORD dst_unused:UNUSED_PAD src0_sel:DWORD src1_sel:WORD_0
	v_add_u32_e32 v7, 2, v3
	ds_write_b32 v5, v7 offset:1024
	ds_write_b32 v8, v7 offset:3072
.LBB2_33:
	s_or_b64 exec, exec, s[10:11]
	v_cmp_ne_u16_sdwa s[10:11], v1, v4 src0_sel:DWORD src1_sel:WORD_0
	s_and_saveexec_b64 s[8:9], s[10:11]
	s_cbranch_execz .LBB2_35
; %bb.34:
	v_mov_b32_e32 v5, 2
	v_lshlrev_b32_sdwa v7, v5, v1 dst_sel:DWORD dst_unused:UNUSED_PAD src0_sel:DWORD src1_sel:WORD_0
	v_lshlrev_b32_sdwa v4, v5, v4 dst_sel:DWORD dst_unused:UNUSED_PAD src0_sel:DWORD src1_sel:WORD_0
	v_add_u32_e32 v5, 1, v3
	ds_write_b32 v4, v5 offset:1024
	ds_write_b32 v7, v5 offset:3072
.LBB2_35:
	s_or_b64 exec, exec, s[8:9]
	s_waitcnt lgkmcnt(0)
	s_barrier
	s_and_saveexec_b64 s[8:9], s[4:5]
	s_cbranch_execz .LBB2_38
; %bb.36:
	v_add_u32_e32 v4, -2, v2
	ds_read_u16 v5, v4
	s_waitcnt lgkmcnt(0)
	v_cmp_ne_u16_sdwa s[4:5], v5, v1 src0_sel:DWORD src1_sel:WORD_0
	s_and_b64 exec, exec, s[4:5]
	s_cbranch_execz .LBB2_38
; %bb.37:
	v_mov_b32_e32 v5, 2
	v_lshlrev_b32_sdwa v5, v5, v1 dst_sel:DWORD dst_unused:UNUSED_PAD src0_sel:DWORD src1_sel:WORD_0
	ds_write_b32 v5, v3 offset:1024
	ds_read_u16 v4, v4
	s_waitcnt lgkmcnt(0)
	v_lshlrev_b32_e32 v4, 2, v4
	ds_write_b32 v4, v3 offset:3072
.LBB2_38:
	s_or_b64 exec, exec, s[8:9]
	s_waitcnt lgkmcnt(0)
	s_barrier
	s_and_saveexec_b64 s[4:5], s[2:3]
; %bb.39:
	v_mov_b32_e32 v3, 2
	v_lshlrev_b32_sdwa v1, v3, v1 dst_sel:DWORD dst_unused:UNUSED_PAD src0_sel:DWORD src1_sel:WORD_0
	v_mov_b32_e32 v3, 0
	ds_write_b32 v1, v3 offset:1024
; %bb.40:
	s_or_b64 exec, exec, s[4:5]
	s_waitcnt lgkmcnt(0)
	s_barrier
	s_and_saveexec_b64 s[2:3], s[0:1]
	s_cbranch_execz .LBB2_42
; %bb.41:
	v_add_u32_e32 v1, v2, v6
	ds_read2st64_b32 v[3:4], v1 offset0:4 offset1:12
	ds_read_u16 v1, v6 offset:5120
	s_waitcnt lgkmcnt(1)
	v_sub_u32_e32 v3, v4, v3
	s_waitcnt lgkmcnt(0)
	v_add_u16_e32 v1, v1, v3
	ds_write_b16 v6, v1 offset:5120
.LBB2_42:
	s_or_b64 exec, exec, s[2:3]
	s_and_saveexec_b64 s[2:3], vcc
	s_cbranch_execz .LBB2_44
; %bb.43:
	v_add_u32_e32 v1, v2, v6
	ds_read2st64_b32 v[1:2], v1 offset0:8 offset1:16
	ds_read_u16 v3, v6 offset:5632
	s_waitcnt lgkmcnt(1)
	v_sub_u32_e32 v1, v2, v1
	s_waitcnt lgkmcnt(0)
	v_add_u16_e32 v1, v3, v1
	ds_write_b16 v6, v1 offset:5632
.LBB2_44:
	s_or_b64 exec, exec, s[2:3]
	s_lshl_b32 s4, s6, 9
	v_mov_b32_e32 v1, s4
	s_waitcnt lgkmcnt(0)
	s_barrier
	s_and_saveexec_b64 s[2:3], s[0:1]
	s_cbranch_execnz .LBB2_47
; %bb.45:
	s_or_b64 exec, exec, s[2:3]
	s_and_saveexec_b64 s[0:1], vcc
	s_cbranch_execnz .LBB2_48
.LBB2_46:
	s_endpgm
.LBB2_47:
	v_or_b32_e32 v1, s4, v0
	v_mov_b32_e32 v2, 0
	ds_read_u16 v4, v6 offset:5120
	v_lshlrev_b64 v[1:2], 1, v[1:2]
	v_mov_b32_e32 v3, s39
	v_add_co_u32_e64 v1, s[0:1], s38, v1
	s_or_b32 s5, s4, 0x100
	v_addc_co_u32_e64 v2, s[0:1], v3, v2, s[0:1]
	s_waitcnt lgkmcnt(0)
	global_store_short v[1:2], v4, off
	v_mov_b32_e32 v1, s5
	s_or_b64 exec, exec, s[2:3]
	s_and_saveexec_b64 s[0:1], vcc
	s_cbranch_execz .LBB2_46
.LBB2_48:
	v_add_u32_e32 v0, v1, v0
	v_mov_b32_e32 v1, 0
	ds_read_u16 v3, v6 offset:5632
	v_lshlrev_b64 v[0:1], 1, v[0:1]
	v_mov_b32_e32 v2, s39
	v_add_co_u32_e32 v0, vcc, s38, v0
	v_addc_co_u32_e32 v1, vcc, v2, v1, vcc
	s_waitcnt lgkmcnt(0)
	global_store_short v[0:1], v3, off
	s_endpgm
	.section	.rodata,"a",@progbits
	.p2align	6, 0x0
	.amdhsa_kernel _Z16histogram_kernelILj256ELj3ELj512ELN6hipcub23BlockHistogramAlgorithmE1EtEvPT3_S3_
		.amdhsa_group_segment_fixed_size 6144
		.amdhsa_private_segment_fixed_size 0
		.amdhsa_kernarg_size 272
		.amdhsa_user_sgpr_count 6
		.amdhsa_user_sgpr_private_segment_buffer 1
		.amdhsa_user_sgpr_dispatch_ptr 0
		.amdhsa_user_sgpr_queue_ptr 0
		.amdhsa_user_sgpr_kernarg_segment_ptr 1
		.amdhsa_user_sgpr_dispatch_id 0
		.amdhsa_user_sgpr_flat_scratch_init 0
		.amdhsa_user_sgpr_private_segment_size 0
		.amdhsa_uses_dynamic_stack 0
		.amdhsa_system_sgpr_private_segment_wavefront_offset 0
		.amdhsa_system_sgpr_workgroup_id_x 1
		.amdhsa_system_sgpr_workgroup_id_y 0
		.amdhsa_system_sgpr_workgroup_id_z 0
		.amdhsa_system_sgpr_workgroup_info 0
		.amdhsa_system_vgpr_workitem_id 2
		.amdhsa_next_free_vgpr 28
		.amdhsa_next_free_sgpr 40
		.amdhsa_reserve_vcc 1
		.amdhsa_reserve_flat_scratch 0
		.amdhsa_float_round_mode_32 0
		.amdhsa_float_round_mode_16_64 0
		.amdhsa_float_denorm_mode_32 3
		.amdhsa_float_denorm_mode_16_64 3
		.amdhsa_dx10_clamp 1
		.amdhsa_ieee_mode 1
		.amdhsa_fp16_overflow 0
		.amdhsa_exception_fp_ieee_invalid_op 0
		.amdhsa_exception_fp_denorm_src 0
		.amdhsa_exception_fp_ieee_div_zero 0
		.amdhsa_exception_fp_ieee_overflow 0
		.amdhsa_exception_fp_ieee_underflow 0
		.amdhsa_exception_fp_ieee_inexact 0
		.amdhsa_exception_int_div_zero 0
	.end_amdhsa_kernel
	.section	.text._Z16histogram_kernelILj256ELj3ELj512ELN6hipcub23BlockHistogramAlgorithmE1EtEvPT3_S3_,"axG",@progbits,_Z16histogram_kernelILj256ELj3ELj512ELN6hipcub23BlockHistogramAlgorithmE1EtEvPT3_S3_,comdat
.Lfunc_end2:
	.size	_Z16histogram_kernelILj256ELj3ELj512ELN6hipcub23BlockHistogramAlgorithmE1EtEvPT3_S3_, .Lfunc_end2-_Z16histogram_kernelILj256ELj3ELj512ELN6hipcub23BlockHistogramAlgorithmE1EtEvPT3_S3_
                                        ; -- End function
	.set _Z16histogram_kernelILj256ELj3ELj512ELN6hipcub23BlockHistogramAlgorithmE1EtEvPT3_S3_.num_vgpr, 28
	.set _Z16histogram_kernelILj256ELj3ELj512ELN6hipcub23BlockHistogramAlgorithmE1EtEvPT3_S3_.num_agpr, 0
	.set _Z16histogram_kernelILj256ELj3ELj512ELN6hipcub23BlockHistogramAlgorithmE1EtEvPT3_S3_.numbered_sgpr, 40
	.set _Z16histogram_kernelILj256ELj3ELj512ELN6hipcub23BlockHistogramAlgorithmE1EtEvPT3_S3_.num_named_barrier, 0
	.set _Z16histogram_kernelILj256ELj3ELj512ELN6hipcub23BlockHistogramAlgorithmE1EtEvPT3_S3_.private_seg_size, 0
	.set _Z16histogram_kernelILj256ELj3ELj512ELN6hipcub23BlockHistogramAlgorithmE1EtEvPT3_S3_.uses_vcc, 1
	.set _Z16histogram_kernelILj256ELj3ELj512ELN6hipcub23BlockHistogramAlgorithmE1EtEvPT3_S3_.uses_flat_scratch, 0
	.set _Z16histogram_kernelILj256ELj3ELj512ELN6hipcub23BlockHistogramAlgorithmE1EtEvPT3_S3_.has_dyn_sized_stack, 0
	.set _Z16histogram_kernelILj256ELj3ELj512ELN6hipcub23BlockHistogramAlgorithmE1EtEvPT3_S3_.has_recursion, 0
	.set _Z16histogram_kernelILj256ELj3ELj512ELN6hipcub23BlockHistogramAlgorithmE1EtEvPT3_S3_.has_indirect_call, 0
	.section	.AMDGPU.csdata,"",@progbits
; Kernel info:
; codeLenInByte = 4856
; TotalNumSgprs: 44
; NumVgprs: 28
; ScratchSize: 0
; MemoryBound: 0
; FloatMode: 240
; IeeeMode: 1
; LDSByteSize: 6144 bytes/workgroup (compile time only)
; SGPRBlocks: 5
; VGPRBlocks: 6
; NumSGPRsForWavesPerEU: 44
; NumVGPRsForWavesPerEU: 28
; Occupancy: 9
; WaveLimiterHint : 0
; COMPUTE_PGM_RSRC2:SCRATCH_EN: 0
; COMPUTE_PGM_RSRC2:USER_SGPR: 6
; COMPUTE_PGM_RSRC2:TRAP_HANDLER: 0
; COMPUTE_PGM_RSRC2:TGID_X_EN: 1
; COMPUTE_PGM_RSRC2:TGID_Y_EN: 0
; COMPUTE_PGM_RSRC2:TGID_Z_EN: 0
; COMPUTE_PGM_RSRC2:TIDIG_COMP_CNT: 2
	.section	.text._Z16histogram_kernelILj32ELj2ELj64ELN6hipcub23BlockHistogramAlgorithmE1EtEvPT3_S3_,"axG",@progbits,_Z16histogram_kernelILj32ELj2ELj64ELN6hipcub23BlockHistogramAlgorithmE1EtEvPT3_S3_,comdat
	.protected	_Z16histogram_kernelILj32ELj2ELj64ELN6hipcub23BlockHistogramAlgorithmE1EtEvPT3_S3_ ; -- Begin function _Z16histogram_kernelILj32ELj2ELj64ELN6hipcub23BlockHistogramAlgorithmE1EtEvPT3_S3_
	.globl	_Z16histogram_kernelILj32ELj2ELj64ELN6hipcub23BlockHistogramAlgorithmE1EtEvPT3_S3_
	.p2align	8
	.type	_Z16histogram_kernelILj32ELj2ELj64ELN6hipcub23BlockHistogramAlgorithmE1EtEvPT3_S3_,@function
_Z16histogram_kernelILj32ELj2ELj64ELN6hipcub23BlockHistogramAlgorithmE1EtEvPT3_S3_: ; @_Z16histogram_kernelILj32ELj2ELj64ELN6hipcub23BlockHistogramAlgorithmE1EtEvPT3_S3_
; %bb.0:
	s_load_dwordx4 s[20:23], s[4:5], 0x0
	s_lshl_b32 s24, s6, 6
	v_lshlrev_b32_e32 v9, 1, v0
	v_or_b32_e32 v1, s24, v9
	v_mov_b32_e32 v2, 0
	v_lshlrev_b64 v[3:4], 1, v[1:2]
	s_waitcnt lgkmcnt(0)
	v_mov_b32_e32 v1, s21
	v_add_co_u32_e32 v3, vcc, s20, v3
	v_addc_co_u32_e32 v4, vcc, v1, v4, vcc
	global_load_dword v12, v[3:4], off
	v_cmp_gt_u32_e64 s[0:1], 64, v0
	s_and_saveexec_b64 s[2:3], s[0:1]
; %bb.1:
	ds_write_b16 v9, v2 offset:1040
; %bb.2:
	s_or_b64 exec, exec, s[2:3]
	v_cmp_gt_u32_e32 vcc, 32, v0
	s_and_saveexec_b64 s[2:3], vcc
; %bb.3:
	v_mov_b32_e32 v1, 0
	ds_write_b16 v9, v1 offset:1104
; %bb.4:
	s_or_b64 exec, exec, s[2:3]
	s_movk_i32 s2, 0x100
	v_lshlrev_b32_e32 v11, 5, v0
	v_mul_i32_i24_e32 v1, 0xffffffe4, v0
	v_cmp_gt_u32_e64 s[2:3], s2, v0
	v_add_u32_e32 v10, v11, v1
	s_waitcnt lgkmcnt(0)
	; wave barrier
	s_and_saveexec_b64 s[6:7], s[2:3]
	s_cbranch_execz .LBB3_13
; %bb.5:
	s_movk_i32 s4, 0xe0
	v_mov_b32_e32 v1, 0
	v_cmp_gt_u32_e64 s[4:5], s4, v0
	ds_write_b32 v10, v1
	s_and_b64 exec, exec, s[4:5]
	s_cbranch_execz .LBB3_13
; %bb.6:
	s_movk_i32 s4, 0xc0
	v_cmp_gt_u32_e64 s[4:5], s4, v0
	ds_write_b32 v10, v1 offset:128
	s_and_b64 exec, exec, s[4:5]
	s_cbranch_execz .LBB3_13
; %bb.7:
	s_movk_i32 s4, 0xa0
	v_mov_b32_e32 v1, 0
	v_cmp_gt_u32_e64 s[4:5], s4, v0
	ds_write_b32 v10, v1 offset:256
	s_and_b64 exec, exec, s[4:5]
	s_cbranch_execz .LBB3_13
; %bb.8:
	s_movk_i32 s4, 0x80
	v_cmp_gt_u32_e64 s[4:5], s4, v0
	ds_write_b32 v10, v1 offset:384
	s_and_b64 exec, exec, s[4:5]
	s_cbranch_execz .LBB3_13
; %bb.9:
	s_movk_i32 s4, 0x60
	v_mov_b32_e32 v1, 0
	v_cmp_gt_u32_e64 s[4:5], s4, v0
	ds_write_b32 v10, v1 offset:512
	s_and_b64 exec, exec, s[4:5]
	s_cbranch_execz .LBB3_13
; %bb.10:
	ds_write_b32 v10, v1 offset:640
	s_and_b64 exec, exec, s[0:1]
	s_cbranch_execz .LBB3_13
; %bb.11:
	v_mov_b32_e32 v1, 0
	ds_write_b32 v10, v1 offset:768
	s_and_b64 exec, exec, vcc
; %bb.12:
	ds_write_b32 v10, v1 offset:896
.LBB3_13:
	s_or_b64 exec, exec, s[6:7]
	v_mov_b32_e32 v1, 5
	s_waitcnt vmcnt(0)
	v_lshlrev_b32_sdwa v1, v1, v12 dst_sel:DWORD dst_unused:UNUSED_PAD src0_sel:DWORD src1_sel:WORD_0
	s_movk_i32 s4, 0xe0
	v_lshrrev_b32_e32 v2, 2, v12
	v_and_or_b32 v1, v1, s4, v0
	v_and_b32_e32 v2, 2, v2
	v_lshl_or_b32 v16, v1, 2, v2
	ds_read_u16 v15, v16
	v_lshrrev_b32_e32 v14, 16, v12
	v_lshrrev_b32_e32 v2, 18, v12
	v_and_b32_e32 v2, 2, v2
	v_mbcnt_lo_u32_b32 v13, -1, 0
	s_waitcnt lgkmcnt(0)
	v_add_u16_e32 v1, 1, v15
	ds_write_b16 v16, v1
	v_lshlrev_b32_e32 v1, 5, v14
	v_and_or_b32 v1, v1, s4, v0
	v_lshl_or_b32 v18, v1, 2, v2
	ds_read_u16 v17, v18
	v_mbcnt_hi_u32_b32 v13, -1, v13
	v_and_b32_e32 v19, 15, v13
	v_cmp_eq_u32_e64 s[4:5], 0, v19
	v_cmp_lt_u32_e64 s[6:7], 1, v19
	s_waitcnt lgkmcnt(0)
	v_add_u16_e32 v1, 1, v17
	ds_write_b16 v18, v1
	s_waitcnt lgkmcnt(0)
	; wave barrier
	ds_read2_b64 v[5:8], v11 offset1:1
	ds_read2_b64 v[1:4], v11 offset0:2 offset1:3
	v_cmp_lt_u32_e64 s[12:13], 3, v19
	v_cmp_lt_u32_e64 s[16:17], 7, v19
	v_and_b32_e32 v19, 16, v13
	s_waitcnt lgkmcnt(1)
	v_add_u32_e32 v20, v6, v5
	v_add3_u32 v20, v20, v7, v8
	s_waitcnt lgkmcnt(0)
	v_add3_u32 v20, v20, v1, v2
	v_add3_u32 v4, v20, v3, v4
	v_cmp_eq_u32_e64 s[14:15], 0, v19
	v_bfe_i32 v19, v13, 4, 1
	v_mov_b32_dpp v20, v4 row_shr:1 row_mask:0xf bank_mask:0xf
	v_cndmask_b32_e64 v20, v20, 0, s[4:5]
	v_add_u32_e32 v4, v20, v4
	v_cmp_eq_u32_e64 s[8:9], 31, v0
	s_nop 0
	v_mov_b32_dpp v20, v4 row_shr:2 row_mask:0xf bank_mask:0xf
	v_cndmask_b32_e64 v20, 0, v20, s[6:7]
	v_add_u32_e32 v4, v4, v20
	s_nop 1
	v_mov_b32_dpp v20, v4 row_shr:4 row_mask:0xf bank_mask:0xf
	v_cndmask_b32_e64 v20, 0, v20, s[12:13]
	v_add_u32_e32 v4, v4, v20
	;; [unrolled: 4-line block ×3, first 2 shown]
	s_nop 1
	v_mov_b32_dpp v20, v4 row_bcast:15 row_mask:0xf bank_mask:0xf
	v_and_b32_e32 v19, v19, v20
	v_add_u32_e32 v4, v4, v19
	s_and_saveexec_b64 s[10:11], s[8:9]
; %bb.14:
	v_mov_b32_e32 v19, 0
	ds_write_b32 v19, v4 offset:1024
; %bb.15:
	s_or_b64 exec, exec, s[10:11]
	v_subrev_co_u32_e64 v19, s[10:11], 1, v13
	v_and_b32_e32 v20, 0x60, v13
	v_cmp_lt_i32_e64 s[18:19], v19, v20
	v_cndmask_b32_e64 v13, v19, v13, s[18:19]
	v_lshlrev_b32_e32 v13, 2, v13
	ds_bpermute_b32 v4, v13, v4
	s_waitcnt lgkmcnt(0)
	; wave barrier
	v_cndmask_b32_e64 v19, v4, 0, s[10:11]
	v_mov_b32_e32 v4, 0
	ds_read_b32 v20, v4 offset:1024
	s_waitcnt lgkmcnt(0)
	v_lshl_add_u32 v19, v20, 16, v19
	v_add_u32_e32 v20, v19, v5
	v_add_u32_e32 v5, v20, v6
	;; [unrolled: 1-line block ×7, first 2 shown]
	ds_write2_b64 v11, v[19:20], v[5:6] offset1:1
	ds_write2_b64 v11, v[7:8], v[1:2] offset0:2 offset1:3
	s_waitcnt lgkmcnt(0)
	; wave barrier
	ds_read_u16 v1, v18
	ds_read_u16 v2, v16
	v_mov_b32_e32 v3, 1
	v_lshlrev_b32_sdwa v5, v3, v15 dst_sel:DWORD dst_unused:UNUSED_PAD src0_sel:DWORD src1_sel:WORD_0
	s_waitcnt lgkmcnt(0)
	; wave barrier
	v_lshl_add_u32 v2, v2, 1, v5
	ds_write_b16 v2, v12
	v_lshlrev_b32_sdwa v2, v3, v17 dst_sel:DWORD dst_unused:UNUSED_PAD src0_sel:DWORD src1_sel:WORD_0
	v_lshl_add_u32 v1, v1, 1, v2
	ds_write_b16 v1, v14
	s_waitcnt lgkmcnt(0)
	; wave barrier
	ds_read_b32 v14, v10
	v_lshlrev_b32_e32 v12, 2, v0
	s_waitcnt lgkmcnt(0)
	; wave barrier
	s_and_saveexec_b64 s[20:21], s[2:3]
	s_cbranch_execz .LBB3_24
; %bb.16:
	s_movk_i32 s18, 0xe0
	v_cmp_gt_u32_e64 s[18:19], s18, v0
	ds_write_b32 v12, v4
	s_and_b64 exec, exec, s[18:19]
	s_cbranch_execz .LBB3_24
; %bb.17:
	s_movk_i32 s18, 0xc0
	v_mov_b32_e32 v1, 0
	v_cmp_gt_u32_e64 s[18:19], s18, v0
	ds_write_b32 v12, v1 offset:128
	s_and_b64 exec, exec, s[18:19]
	s_cbranch_execz .LBB3_24
; %bb.18:
	s_movk_i32 s18, 0xa0
	v_cmp_gt_u32_e64 s[18:19], s18, v0
	ds_write_b32 v12, v1 offset:256
	s_and_b64 exec, exec, s[18:19]
	s_cbranch_execz .LBB3_24
; %bb.19:
	s_movk_i32 s18, 0x80
	v_mov_b32_e32 v1, 0
	v_cmp_gt_u32_e64 s[18:19], s18, v0
	ds_write_b32 v12, v1 offset:384
	s_and_b64 exec, exec, s[18:19]
	s_cbranch_execz .LBB3_24
; %bb.20:
	s_movk_i32 s18, 0x60
	v_cmp_gt_u32_e64 s[18:19], s18, v0
	ds_write_b32 v12, v1 offset:512
	s_and_b64 exec, exec, s[18:19]
	s_cbranch_execz .LBB3_24
; %bb.21:
	v_mov_b32_e32 v1, 0
	ds_write_b32 v12, v1 offset:640
	s_and_b64 exec, exec, s[0:1]
	s_cbranch_execz .LBB3_24
; %bb.22:
	ds_write_b32 v12, v1 offset:768
	s_and_b64 exec, exec, vcc
; %bb.23:
	v_mov_b32_e32 v1, 0
	ds_write_b32 v12, v1 offset:896
.LBB3_24:
	s_or_b64 exec, exec, s[20:21]
	v_lshrrev_b16_e32 v1, 4, v14
	v_lshlrev_b32_e32 v2, 5, v1
	s_movk_i32 s18, 0xe0
	v_lshrrev_b32_e32 v1, 2, v1
	v_and_or_b32 v2, v2, s18, v0
	v_and_b32_e32 v1, 2, v1
	v_lshl_or_b32 v16, v2, 2, v1
	ds_read_u16 v15, v16
	v_lshrrev_b32_e32 v1, 15, v14
	v_and_or_b32 v1, v1, s18, v0
	v_lshrrev_b32_e32 v18, 16, v14
	s_waitcnt lgkmcnt(0)
	v_add_u16_e32 v2, 1, v15
	ds_write_b16 v16, v2
	v_lshrrev_b32_e32 v2, 22, v14
	v_and_b32_e32 v2, 2, v2
	v_lshl_or_b32 v19, v1, 2, v2
	ds_read_u16 v17, v19
	s_waitcnt lgkmcnt(0)
	v_add_u16_e32 v1, 1, v17
	ds_write_b16 v19, v1
	s_waitcnt lgkmcnt(0)
	; wave barrier
	ds_read2_b64 v[5:8], v11 offset1:1
	ds_read2_b64 v[1:4], v11 offset0:2 offset1:3
	s_waitcnt lgkmcnt(1)
	v_add_u32_e32 v20, v6, v5
	v_add3_u32 v20, v20, v7, v8
	s_waitcnt lgkmcnt(0)
	v_add3_u32 v20, v20, v1, v2
	v_add3_u32 v4, v20, v3, v4
	s_nop 1
	v_mov_b32_dpp v20, v4 row_shr:1 row_mask:0xf bank_mask:0xf
	v_cndmask_b32_e64 v20, v20, 0, s[4:5]
	v_add_u32_e32 v4, v20, v4
	s_nop 1
	v_mov_b32_dpp v20, v4 row_shr:2 row_mask:0xf bank_mask:0xf
	v_cndmask_b32_e64 v20, 0, v20, s[6:7]
	v_add_u32_e32 v4, v4, v20
	;; [unrolled: 4-line block ×4, first 2 shown]
	s_nop 1
	v_mov_b32_dpp v20, v4 row_bcast:15 row_mask:0xf bank_mask:0xf
	v_cndmask_b32_e64 v20, v20, 0, s[14:15]
	v_add_u32_e32 v4, v4, v20
	s_and_saveexec_b64 s[18:19], s[8:9]
; %bb.25:
	v_mov_b32_e32 v20, 0
	ds_write_b32 v20, v4 offset:1024
; %bb.26:
	s_or_b64 exec, exec, s[18:19]
	ds_bpermute_b32 v20, v13, v4
	v_mov_b32_e32 v4, 0
	s_waitcnt lgkmcnt(0)
	; wave barrier
	ds_read_b32 v21, v4 offset:1024
	v_cndmask_b32_e64 v20, v20, 0, s[10:11]
	s_waitcnt lgkmcnt(0)
	v_lshl_add_u32 v20, v21, 16, v20
	v_add_u32_e32 v21, v20, v5
	v_add_u32_e32 v5, v21, v6
	;; [unrolled: 1-line block ×7, first 2 shown]
	ds_write2_b64 v11, v[20:21], v[5:6] offset1:1
	ds_write2_b64 v11, v[7:8], v[1:2] offset0:2 offset1:3
	s_waitcnt lgkmcnt(0)
	; wave barrier
	ds_read_u16 v1, v19
	ds_read_u16 v2, v16
	v_mov_b32_e32 v3, 1
	v_lshlrev_b32_sdwa v5, v3, v15 dst_sel:DWORD dst_unused:UNUSED_PAD src0_sel:DWORD src1_sel:WORD_0
	s_waitcnt lgkmcnt(0)
	; wave barrier
	v_lshl_add_u32 v2, v2, 1, v5
	ds_write_b16 v2, v14
	v_lshlrev_b32_sdwa v2, v3, v17 dst_sel:DWORD dst_unused:UNUSED_PAD src0_sel:DWORD src1_sel:WORD_0
	v_lshl_add_u32 v1, v1, 1, v2
	ds_write_b16 v1, v18
	s_waitcnt lgkmcnt(0)
	; wave barrier
	ds_read_b32 v14, v10
	s_waitcnt lgkmcnt(0)
	; wave barrier
	s_and_saveexec_b64 s[20:21], s[2:3]
	s_cbranch_execz .LBB3_35
; %bb.27:
	s_movk_i32 s18, 0xe0
	v_cmp_gt_u32_e64 s[18:19], s18, v0
	ds_write_b32 v12, v4
	s_and_b64 exec, exec, s[18:19]
	s_cbranch_execz .LBB3_35
; %bb.28:
	s_movk_i32 s18, 0xc0
	v_mov_b32_e32 v1, 0
	v_cmp_gt_u32_e64 s[18:19], s18, v0
	ds_write_b32 v12, v1 offset:128
	s_and_b64 exec, exec, s[18:19]
	s_cbranch_execz .LBB3_35
; %bb.29:
	s_movk_i32 s18, 0xa0
	v_cmp_gt_u32_e64 s[18:19], s18, v0
	ds_write_b32 v12, v1 offset:256
	s_and_b64 exec, exec, s[18:19]
	s_cbranch_execz .LBB3_35
; %bb.30:
	s_movk_i32 s18, 0x80
	v_mov_b32_e32 v1, 0
	v_cmp_gt_u32_e64 s[18:19], s18, v0
	ds_write_b32 v12, v1 offset:384
	s_and_b64 exec, exec, s[18:19]
	s_cbranch_execz .LBB3_35
; %bb.31:
	s_movk_i32 s18, 0x60
	v_cmp_gt_u32_e64 s[18:19], s18, v0
	ds_write_b32 v12, v1 offset:512
	s_and_b64 exec, exec, s[18:19]
	s_cbranch_execz .LBB3_35
; %bb.32:
	v_mov_b32_e32 v1, 0
	ds_write_b32 v12, v1 offset:640
	s_and_b64 exec, exec, s[0:1]
	s_cbranch_execz .LBB3_35
; %bb.33:
	ds_write_b32 v12, v1 offset:768
	s_and_b64 exec, exec, vcc
; %bb.34:
	v_mov_b32_e32 v1, 0
	ds_write_b32 v12, v1 offset:896
.LBB3_35:
	s_or_b64 exec, exec, s[20:21]
	v_mov_b32_e32 v1, 5
	v_mov_b32_e32 v3, 2
	v_lshlrev_b32_sdwa v2, v1, v14 dst_sel:DWORD dst_unused:UNUSED_PAD src0_sel:DWORD src1_sel:BYTE_1
	s_movk_i32 s18, 0xe0
	v_lshrrev_b32_sdwa v3, v3, v14 dst_sel:DWORD dst_unused:UNUSED_PAD src0_sel:DWORD src1_sel:BYTE_1
	v_and_or_b32 v2, v2, s18, v0
	v_and_b32_e32 v3, 2, v3
	v_lshl_or_b32 v16, v2, 2, v3
	ds_read_u16 v15, v16
	v_lshlrev_b32_sdwa v1, v1, v14 dst_sel:DWORD dst_unused:UNUSED_PAD src0_sel:DWORD src1_sel:BYTE_3
	v_and_or_b32 v1, v1, s18, v0
	v_lshrrev_b32_e32 v18, 16, v14
	s_waitcnt lgkmcnt(0)
	v_add_u16_e32 v2, 1, v15
	ds_write_b16 v16, v2
	v_lshrrev_b32_e32 v2, 26, v14
	v_and_b32_e32 v2, 2, v2
	v_lshl_or_b32 v19, v1, 2, v2
	ds_read_u16 v17, v19
	s_waitcnt lgkmcnt(0)
	v_add_u16_e32 v1, 1, v17
	ds_write_b16 v19, v1
	s_waitcnt lgkmcnt(0)
	; wave barrier
	ds_read2_b64 v[5:8], v11 offset1:1
	ds_read2_b64 v[1:4], v11 offset0:2 offset1:3
	s_waitcnt lgkmcnt(1)
	v_add_u32_e32 v20, v6, v5
	v_add3_u32 v20, v20, v7, v8
	s_waitcnt lgkmcnt(0)
	v_add3_u32 v20, v20, v1, v2
	v_add3_u32 v4, v20, v3, v4
	s_nop 1
	v_mov_b32_dpp v20, v4 row_shr:1 row_mask:0xf bank_mask:0xf
	v_cndmask_b32_e64 v20, v20, 0, s[4:5]
	v_add_u32_e32 v4, v20, v4
	s_nop 1
	v_mov_b32_dpp v20, v4 row_shr:2 row_mask:0xf bank_mask:0xf
	v_cndmask_b32_e64 v20, 0, v20, s[6:7]
	v_add_u32_e32 v4, v4, v20
	s_nop 1
	v_mov_b32_dpp v20, v4 row_shr:4 row_mask:0xf bank_mask:0xf
	v_cndmask_b32_e64 v20, 0, v20, s[12:13]
	v_add_u32_e32 v4, v4, v20
	s_nop 1
	v_mov_b32_dpp v20, v4 row_shr:8 row_mask:0xf bank_mask:0xf
	v_cndmask_b32_e64 v20, 0, v20, s[16:17]
	v_add_u32_e32 v4, v4, v20
	s_nop 1
	v_mov_b32_dpp v20, v4 row_bcast:15 row_mask:0xf bank_mask:0xf
	v_cndmask_b32_e64 v20, v20, 0, s[14:15]
	v_add_u32_e32 v4, v4, v20
	s_and_saveexec_b64 s[18:19], s[8:9]
; %bb.36:
	v_mov_b32_e32 v20, 0
	ds_write_b32 v20, v4 offset:1024
; %bb.37:
	s_or_b64 exec, exec, s[18:19]
	ds_bpermute_b32 v20, v13, v4
	v_mov_b32_e32 v4, 0
	s_waitcnt lgkmcnt(0)
	; wave barrier
	ds_read_b32 v21, v4 offset:1024
	v_cndmask_b32_e64 v20, v20, 0, s[10:11]
	s_waitcnt lgkmcnt(0)
	v_lshl_add_u32 v20, v21, 16, v20
	v_add_u32_e32 v21, v20, v5
	v_add_u32_e32 v5, v21, v6
	;; [unrolled: 1-line block ×7, first 2 shown]
	ds_write2_b64 v11, v[20:21], v[5:6] offset1:1
	ds_write2_b64 v11, v[7:8], v[1:2] offset0:2 offset1:3
	s_waitcnt lgkmcnt(0)
	; wave barrier
	ds_read_u16 v1, v19
	ds_read_u16 v2, v16
	v_mov_b32_e32 v3, 1
	v_lshlrev_b32_sdwa v5, v3, v15 dst_sel:DWORD dst_unused:UNUSED_PAD src0_sel:DWORD src1_sel:WORD_0
	s_waitcnt lgkmcnt(0)
	; wave barrier
	v_lshl_add_u32 v2, v2, 1, v5
	ds_write_b16 v2, v14
	v_lshlrev_b32_sdwa v2, v3, v17 dst_sel:DWORD dst_unused:UNUSED_PAD src0_sel:DWORD src1_sel:WORD_0
	v_lshl_add_u32 v1, v1, 1, v2
	ds_write_b16 v1, v18
	s_waitcnt lgkmcnt(0)
	; wave barrier
	ds_read_b32 v14, v10
	s_waitcnt lgkmcnt(0)
	; wave barrier
	s_and_saveexec_b64 s[18:19], s[2:3]
	s_cbranch_execz .LBB3_46
; %bb.38:
	s_movk_i32 s2, 0xe0
	v_cmp_gt_u32_e64 s[2:3], s2, v0
	ds_write_b32 v12, v4
	s_and_b64 exec, exec, s[2:3]
	s_cbranch_execz .LBB3_46
; %bb.39:
	s_movk_i32 s2, 0xc0
	v_mov_b32_e32 v1, 0
	v_cmp_gt_u32_e64 s[2:3], s2, v0
	ds_write_b32 v12, v1 offset:128
	s_and_b64 exec, exec, s[2:3]
	s_cbranch_execz .LBB3_46
; %bb.40:
	s_movk_i32 s2, 0xa0
	v_cmp_gt_u32_e64 s[2:3], s2, v0
	ds_write_b32 v12, v1 offset:256
	s_and_b64 exec, exec, s[2:3]
	s_cbranch_execz .LBB3_46
; %bb.41:
	s_movk_i32 s2, 0x80
	v_mov_b32_e32 v1, 0
	v_cmp_gt_u32_e64 s[2:3], s2, v0
	ds_write_b32 v12, v1 offset:384
	s_and_b64 exec, exec, s[2:3]
	s_cbranch_execz .LBB3_46
; %bb.42:
	s_movk_i32 s2, 0x60
	v_cmp_gt_u32_e64 s[2:3], s2, v0
	ds_write_b32 v12, v1 offset:512
	s_and_b64 exec, exec, s[2:3]
	s_cbranch_execz .LBB3_46
; %bb.43:
	v_mov_b32_e32 v1, 0
	ds_write_b32 v12, v1 offset:640
	s_and_b64 exec, exec, s[0:1]
	s_cbranch_execz .LBB3_46
; %bb.44:
	ds_write_b32 v12, v1 offset:768
	s_and_b64 exec, exec, vcc
; %bb.45:
	v_mov_b32_e32 v1, 0
	ds_write_b32 v12, v1 offset:896
.LBB3_46:
	s_or_b64 exec, exec, s[18:19]
	v_lshrrev_b16_e32 v1, 12, v14
	v_lshlrev_b32_e32 v2, 5, v1
	s_movk_i32 s2, 0xe0
	v_lshrrev_b32_e32 v1, 2, v1
	v_and_or_b32 v2, v2, s2, v0
	v_and_b32_e32 v1, 2, v1
	v_lshl_or_b32 v16, v2, 2, v1
	ds_read_u16 v15, v16
	v_lshrrev_b32_e32 v1, 23, v14
	v_and_or_b32 v1, v1, s2, v0
	v_lshrrev_b32_e32 v18, 16, v14
	s_waitcnt lgkmcnt(0)
	v_add_u16_e32 v2, 1, v15
	ds_write_b16 v16, v2
	v_lshrrev_b32_e32 v2, 30, v14
	v_and_b32_e32 v2, 2, v2
	v_lshl_or_b32 v19, v1, 2, v2
	ds_read_u16 v17, v19
	s_waitcnt lgkmcnt(0)
	v_add_u16_e32 v1, 1, v17
	ds_write_b16 v19, v1
	s_waitcnt lgkmcnt(0)
	; wave barrier
	ds_read2_b64 v[5:8], v11 offset1:1
	ds_read2_b64 v[1:4], v11 offset0:2 offset1:3
	s_waitcnt lgkmcnt(1)
	v_add_u32_e32 v20, v6, v5
	v_add3_u32 v20, v20, v7, v8
	s_waitcnt lgkmcnt(0)
	v_add3_u32 v20, v20, v1, v2
	v_add3_u32 v4, v20, v3, v4
	s_nop 1
	v_mov_b32_dpp v20, v4 row_shr:1 row_mask:0xf bank_mask:0xf
	v_cndmask_b32_e64 v20, v20, 0, s[4:5]
	v_add_u32_e32 v4, v20, v4
	s_nop 1
	v_mov_b32_dpp v20, v4 row_shr:2 row_mask:0xf bank_mask:0xf
	v_cndmask_b32_e64 v20, 0, v20, s[6:7]
	v_add_u32_e32 v4, v4, v20
	;; [unrolled: 4-line block ×4, first 2 shown]
	s_nop 1
	v_mov_b32_dpp v20, v4 row_bcast:15 row_mask:0xf bank_mask:0xf
	v_cndmask_b32_e64 v20, v20, 0, s[14:15]
	v_add_u32_e32 v4, v4, v20
	s_and_saveexec_b64 s[2:3], s[8:9]
; %bb.47:
	v_mov_b32_e32 v20, 0
	ds_write_b32 v20, v4 offset:1024
; %bb.48:
	s_or_b64 exec, exec, s[2:3]
	ds_bpermute_b32 v4, v13, v4
	v_mov_b32_e32 v13, 0
	s_waitcnt lgkmcnt(0)
	; wave barrier
	ds_read_b32 v13, v13 offset:1024
	v_cndmask_b32_e64 v4, v4, 0, s[10:11]
	s_waitcnt lgkmcnt(0)
	v_lshl_add_u32 v4, v13, 16, v4
	v_add_u32_e32 v5, v4, v5
	v_add_u32_e32 v6, v5, v6
	;; [unrolled: 1-line block ×7, first 2 shown]
	ds_write2_b64 v11, v[4:5], v[6:7] offset1:1
	ds_write2_b64 v11, v[20:21], v[1:2] offset0:2 offset1:3
	s_waitcnt lgkmcnt(0)
	; wave barrier
	ds_read_u16 v1, v19
	ds_read_u16 v2, v16
	v_mov_b32_e32 v3, 1
	v_lshlrev_b32_sdwa v4, v3, v15 dst_sel:DWORD dst_unused:UNUSED_PAD src0_sel:DWORD src1_sel:WORD_0
	s_waitcnt lgkmcnt(0)
	; wave barrier
	v_lshl_add_u32 v2, v2, 1, v4
	ds_write_b16 v2, v14
	v_lshlrev_b32_sdwa v2, v3, v17 dst_sel:DWORD dst_unused:UNUSED_PAD src0_sel:DWORD src1_sel:WORD_0
	v_lshl_add_u32 v1, v1, 1, v2
	ds_write_b16 v1, v18
	s_waitcnt lgkmcnt(0)
	; wave barrier
	ds_read_b32 v1, v10
	s_waitcnt lgkmcnt(0)
	; wave barrier
	s_and_saveexec_b64 s[2:3], s[0:1]
	s_cbranch_execz .LBB3_51
; %bb.49:
	v_mov_b32_e32 v2, 64
	ds_write2_b32 v12, v2, v2 offset0:32 offset1:96
	s_and_b64 exec, exec, vcc
; %bb.50:
	ds_write2st64_b32 v12, v2, v2 offset0:1 offset1:2
.LBB3_51:
	s_or_b64 exec, exec, s[2:3]
	v_lshrrev_b32_e32 v2, 16, v1
	v_cmp_ne_u16_e64 s[2:3], v1, v2
	s_waitcnt lgkmcnt(0)
	; wave barrier
	ds_write_b16 v9, v2
	s_and_saveexec_b64 s[4:5], s[2:3]
	s_cbranch_execz .LBB3_53
; %bb.52:
	v_mov_b32_e32 v3, 2
	v_lshlrev_b32_sdwa v4, v3, v1 dst_sel:DWORD dst_unused:UNUSED_PAD src0_sel:DWORD src1_sel:WORD_0
	v_lshlrev_b32_sdwa v2, v3, v2 dst_sel:DWORD dst_unused:UNUSED_PAD src0_sel:DWORD src1_sel:WORD_0
	v_or_b32_e32 v3, 1, v9
	ds_write_b32 v2, v3 offset:128
	ds_write_b32 v4, v3 offset:384
.LBB3_53:
	s_or_b64 exec, exec, s[4:5]
	v_cmp_eq_u32_e64 s[2:3], 0, v0
	v_cmp_ne_u32_e64 s[4:5], 0, v0
	s_waitcnt lgkmcnt(0)
	; wave barrier
	s_and_saveexec_b64 s[6:7], s[4:5]
	s_cbranch_execz .LBB3_56
; %bb.54:
	v_add_u32_e32 v2, -2, v9
	ds_read_u16 v3, v2
	s_waitcnt lgkmcnt(0)
	v_cmp_ne_u16_sdwa s[4:5], v3, v1 src0_sel:DWORD src1_sel:WORD_0
	s_and_b64 exec, exec, s[4:5]
	s_cbranch_execz .LBB3_56
; %bb.55:
	v_mov_b32_e32 v3, 2
	v_lshlrev_b32_sdwa v3, v3, v1 dst_sel:DWORD dst_unused:UNUSED_PAD src0_sel:DWORD src1_sel:WORD_0
	ds_write_b32 v3, v9 offset:128
	ds_read_u16 v2, v2
	s_waitcnt lgkmcnt(0)
	v_lshlrev_b32_e32 v2, 2, v2
	ds_write_b32 v2, v9 offset:384
.LBB3_56:
	s_or_b64 exec, exec, s[6:7]
	s_waitcnt lgkmcnt(0)
	; wave barrier
	s_and_saveexec_b64 s[4:5], s[2:3]
; %bb.57:
	v_mov_b32_e32 v2, 2
	v_lshlrev_b32_sdwa v1, v2, v1 dst_sel:DWORD dst_unused:UNUSED_PAD src0_sel:DWORD src1_sel:WORD_0
	v_mov_b32_e32 v2, 0
	ds_write_b32 v1, v2 offset:128
; %bb.58:
	s_or_b64 exec, exec, s[4:5]
	v_add_u32_e32 v1, v9, v9
	s_waitcnt lgkmcnt(0)
	; wave barrier
	s_and_saveexec_b64 s[2:3], s[0:1]
	s_cbranch_execz .LBB3_60
; %bb.59:
	ds_read2_b32 v[2:3], v1 offset0:32 offset1:96
	ds_read_u16 v4, v9 offset:1040
	s_waitcnt lgkmcnt(1)
	v_sub_u32_e32 v2, v3, v2
	s_waitcnt lgkmcnt(0)
	v_add_u16_e32 v2, v4, v2
	ds_write_b16 v9, v2 offset:1040
.LBB3_60:
	s_or_b64 exec, exec, s[2:3]
	s_and_saveexec_b64 s[2:3], vcc
	s_cbranch_execz .LBB3_62
; %bb.61:
	ds_read2st64_b32 v[1:2], v1 offset0:1 offset1:2
	ds_read_u16 v3, v9 offset:1104
	s_waitcnt lgkmcnt(1)
	v_sub_u32_e32 v1, v2, v1
	s_waitcnt lgkmcnt(0)
	v_add_u16_e32 v1, v3, v1
	ds_write_b16 v9, v1 offset:1104
.LBB3_62:
	s_or_b64 exec, exec, s[2:3]
	v_mov_b32_e32 v1, s24
	s_waitcnt lgkmcnt(0)
	; wave barrier
	s_and_saveexec_b64 s[2:3], s[0:1]
	s_cbranch_execnz .LBB3_65
; %bb.63:
	s_or_b64 exec, exec, s[2:3]
	s_and_saveexec_b64 s[0:1], vcc
	s_cbranch_execnz .LBB3_66
.LBB3_64:
	s_endpgm
.LBB3_65:
	v_or_b32_e32 v1, s24, v0
	v_mov_b32_e32 v2, 0
	ds_read_u16 v4, v9 offset:1040
	v_lshlrev_b64 v[1:2], 1, v[1:2]
	v_mov_b32_e32 v3, s23
	v_add_co_u32_e64 v1, s[0:1], s22, v1
	s_or_b32 s4, s24, 32
	v_addc_co_u32_e64 v2, s[0:1], v3, v2, s[0:1]
	s_waitcnt lgkmcnt(0)
	global_store_short v[1:2], v4, off
	v_mov_b32_e32 v1, s4
	s_or_b64 exec, exec, s[2:3]
	s_and_saveexec_b64 s[0:1], vcc
	s_cbranch_execz .LBB3_64
.LBB3_66:
	v_add_u32_e32 v0, v1, v0
	v_mov_b32_e32 v1, 0
	ds_read_u16 v3, v9 offset:1104
	v_lshlrev_b64 v[0:1], 1, v[0:1]
	v_mov_b32_e32 v2, s23
	v_add_co_u32_e32 v0, vcc, s22, v0
	v_addc_co_u32_e32 v1, vcc, v2, v1, vcc
	s_waitcnt lgkmcnt(0)
	global_store_short v[0:1], v3, off
	s_endpgm
	.section	.rodata,"a",@progbits
	.p2align	6, 0x0
	.amdhsa_kernel _Z16histogram_kernelILj32ELj2ELj64ELN6hipcub23BlockHistogramAlgorithmE1EtEvPT3_S3_
		.amdhsa_group_segment_fixed_size 1168
		.amdhsa_private_segment_fixed_size 0
		.amdhsa_kernarg_size 16
		.amdhsa_user_sgpr_count 6
		.amdhsa_user_sgpr_private_segment_buffer 1
		.amdhsa_user_sgpr_dispatch_ptr 0
		.amdhsa_user_sgpr_queue_ptr 0
		.amdhsa_user_sgpr_kernarg_segment_ptr 1
		.amdhsa_user_sgpr_dispatch_id 0
		.amdhsa_user_sgpr_flat_scratch_init 0
		.amdhsa_user_sgpr_private_segment_size 0
		.amdhsa_uses_dynamic_stack 0
		.amdhsa_system_sgpr_private_segment_wavefront_offset 0
		.amdhsa_system_sgpr_workgroup_id_x 1
		.amdhsa_system_sgpr_workgroup_id_y 0
		.amdhsa_system_sgpr_workgroup_id_z 0
		.amdhsa_system_sgpr_workgroup_info 0
		.amdhsa_system_vgpr_workitem_id 0
		.amdhsa_next_free_vgpr 22
		.amdhsa_next_free_sgpr 25
		.amdhsa_reserve_vcc 1
		.amdhsa_reserve_flat_scratch 0
		.amdhsa_float_round_mode_32 0
		.amdhsa_float_round_mode_16_64 0
		.amdhsa_float_denorm_mode_32 3
		.amdhsa_float_denorm_mode_16_64 3
		.amdhsa_dx10_clamp 1
		.amdhsa_ieee_mode 1
		.amdhsa_fp16_overflow 0
		.amdhsa_exception_fp_ieee_invalid_op 0
		.amdhsa_exception_fp_denorm_src 0
		.amdhsa_exception_fp_ieee_div_zero 0
		.amdhsa_exception_fp_ieee_overflow 0
		.amdhsa_exception_fp_ieee_underflow 0
		.amdhsa_exception_fp_ieee_inexact 0
		.amdhsa_exception_int_div_zero 0
	.end_amdhsa_kernel
	.section	.text._Z16histogram_kernelILj32ELj2ELj64ELN6hipcub23BlockHistogramAlgorithmE1EtEvPT3_S3_,"axG",@progbits,_Z16histogram_kernelILj32ELj2ELj64ELN6hipcub23BlockHistogramAlgorithmE1EtEvPT3_S3_,comdat
.Lfunc_end3:
	.size	_Z16histogram_kernelILj32ELj2ELj64ELN6hipcub23BlockHistogramAlgorithmE1EtEvPT3_S3_, .Lfunc_end3-_Z16histogram_kernelILj32ELj2ELj64ELN6hipcub23BlockHistogramAlgorithmE1EtEvPT3_S3_
                                        ; -- End function
	.set _Z16histogram_kernelILj32ELj2ELj64ELN6hipcub23BlockHistogramAlgorithmE1EtEvPT3_S3_.num_vgpr, 22
	.set _Z16histogram_kernelILj32ELj2ELj64ELN6hipcub23BlockHistogramAlgorithmE1EtEvPT3_S3_.num_agpr, 0
	.set _Z16histogram_kernelILj32ELj2ELj64ELN6hipcub23BlockHistogramAlgorithmE1EtEvPT3_S3_.numbered_sgpr, 25
	.set _Z16histogram_kernelILj32ELj2ELj64ELN6hipcub23BlockHistogramAlgorithmE1EtEvPT3_S3_.num_named_barrier, 0
	.set _Z16histogram_kernelILj32ELj2ELj64ELN6hipcub23BlockHistogramAlgorithmE1EtEvPT3_S3_.private_seg_size, 0
	.set _Z16histogram_kernelILj32ELj2ELj64ELN6hipcub23BlockHistogramAlgorithmE1EtEvPT3_S3_.uses_vcc, 1
	.set _Z16histogram_kernelILj32ELj2ELj64ELN6hipcub23BlockHistogramAlgorithmE1EtEvPT3_S3_.uses_flat_scratch, 0
	.set _Z16histogram_kernelILj32ELj2ELj64ELN6hipcub23BlockHistogramAlgorithmE1EtEvPT3_S3_.has_dyn_sized_stack, 0
	.set _Z16histogram_kernelILj32ELj2ELj64ELN6hipcub23BlockHistogramAlgorithmE1EtEvPT3_S3_.has_recursion, 0
	.set _Z16histogram_kernelILj32ELj2ELj64ELN6hipcub23BlockHistogramAlgorithmE1EtEvPT3_S3_.has_indirect_call, 0
	.section	.AMDGPU.csdata,"",@progbits
; Kernel info:
; codeLenInByte = 3584
; TotalNumSgprs: 29
; NumVgprs: 22
; ScratchSize: 0
; MemoryBound: 0
; FloatMode: 240
; IeeeMode: 1
; LDSByteSize: 1168 bytes/workgroup (compile time only)
; SGPRBlocks: 3
; VGPRBlocks: 5
; NumSGPRsForWavesPerEU: 29
; NumVGPRsForWavesPerEU: 22
; Occupancy: 10
; WaveLimiterHint : 0
; COMPUTE_PGM_RSRC2:SCRATCH_EN: 0
; COMPUTE_PGM_RSRC2:USER_SGPR: 6
; COMPUTE_PGM_RSRC2:TRAP_HANDLER: 0
; COMPUTE_PGM_RSRC2:TGID_X_EN: 1
; COMPUTE_PGM_RSRC2:TGID_Y_EN: 0
; COMPUTE_PGM_RSRC2:TGID_Z_EN: 0
; COMPUTE_PGM_RSRC2:TIDIG_COMP_CNT: 0
	.section	.text._Z16histogram_kernelILj6ELj32ELj18ELN6hipcub23BlockHistogramAlgorithmE1EtEvPT3_S3_,"axG",@progbits,_Z16histogram_kernelILj6ELj32ELj18ELN6hipcub23BlockHistogramAlgorithmE1EtEvPT3_S3_,comdat
	.protected	_Z16histogram_kernelILj6ELj32ELj18ELN6hipcub23BlockHistogramAlgorithmE1EtEvPT3_S3_ ; -- Begin function _Z16histogram_kernelILj6ELj32ELj18ELN6hipcub23BlockHistogramAlgorithmE1EtEvPT3_S3_
	.globl	_Z16histogram_kernelILj6ELj32ELj18ELN6hipcub23BlockHistogramAlgorithmE1EtEvPT3_S3_
	.p2align	8
	.type	_Z16histogram_kernelILj6ELj32ELj18ELN6hipcub23BlockHistogramAlgorithmE1EtEvPT3_S3_,@function
_Z16histogram_kernelILj6ELj32ELj18ELN6hipcub23BlockHistogramAlgorithmE1EtEvPT3_S3_: ; @_Z16histogram_kernelILj6ELj32ELj18ELN6hipcub23BlockHistogramAlgorithmE1EtEvPT3_S3_
; %bb.0:
	s_load_dwordx4 s[28:31], s[4:5], 0x0
	s_mul_i32 s0, s6, 6
	v_add_lshl_u32 v16, s0, v0, 5
	v_mov_b32_e32 v17, 0
	v_lshlrev_b64 v[1:2], 1, v[16:17]
	s_waitcnt lgkmcnt(0)
	v_mov_b32_e32 v3, s29
	v_add_co_u32_e32 v18, vcc, s28, v1
	v_addc_co_u32_e32 v19, vcc, v3, v2, vcc
	global_load_dwordx4 v[13:16], v[18:19], off
	global_load_dwordx4 v[9:12], v[18:19], off offset:16
	global_load_dwordx4 v[5:8], v[18:19], off offset:32
	;; [unrolled: 1-line block ×3, first 2 shown]
	v_cmp_gt_u32_e64 s[4:5], 18, v0
	v_lshlrev_b32_e32 v25, 1, v0
	s_and_saveexec_b64 s[0:1], s[4:5]
	s_cbranch_execnz .LBB4_68
; %bb.1:
	s_or_b64 exec, exec, s[0:1]
	v_cmp_gt_u32_e64 s[2:3], 12, v0
	s_and_saveexec_b64 s[0:1], s[2:3]
	s_cbranch_execnz .LBB4_69
.LBB4_2:
	s_or_b64 exec, exec, s[0:1]
	v_cmp_gt_u32_e64 s[0:1], 6, v0
	s_and_saveexec_b64 s[8:9], s[0:1]
.LBB4_3:
	v_mov_b32_e32 v17, 0
	ds_write_b16 v25, v17 offset:408
.LBB4_4:
	s_or_b64 exec, exec, s[8:9]
	v_mbcnt_lo_u32_b32 v17, -1, 0
	v_mbcnt_hi_u32_b32 v17, -1, v17
	v_and_b32_e32 v18, 7, v17
	v_cmp_eq_u32_e64 s[8:9], 0, v18
	v_cmp_lt_u32_e64 s[10:11], 1, v18
	v_cmp_lt_u32_e64 s[12:13], 3, v18
	v_subrev_co_u32_e64 v18, s[16:17], 1, v17
	v_and_b32_e32 v19, 0x78, v17
	v_cmp_lt_i32_e32 vcc, v18, v19
	v_lshlrev_b32_e32 v26, 5, v0
	v_cndmask_b32_e32 v17, v18, v17, vcc
	v_lshlrev_b32_e32 v28, 2, v17
	v_add_u32_e32 v27, v26, v26
	v_mul_i32_i24_e32 v17, 0xffffffc4, v0
	v_cmp_gt_u32_e64 s[26:27], 48, v0
	s_mov_b32 s7, 0
	v_cmp_eq_u32_e64 s[14:15], 5, v0
	v_cmp_gt_u32_e64 s[18:19], 42, v0
	v_cmp_gt_u32_e64 s[20:21], 36, v0
	;; [unrolled: 1-line block ×4, first 2 shown]
	v_mov_b32_e32 v29, 0
	v_add_u32_e32 v30, v27, v17
	s_waitcnt lgkmcnt(0)
	; wave barrier
	s_branch .LBB4_6
.LBB4_5:                                ;   in Loop: Header=BB4_6 Depth=1
	s_andn2_b64 vcc, exec, s[28:29]
	s_cbranch_vccz .LBB4_19
.LBB4_6:                                ; =>This Inner Loop Header: Depth=1
	s_and_saveexec_b64 s[28:29], s[26:27]
	s_cbranch_execz .LBB4_15
; %bb.7:                                ;   in Loop: Header=BB4_6 Depth=1
	ds_write_b32 v30, v29
	s_and_b64 exec, exec, s[18:19]
	s_cbranch_execz .LBB4_15
; %bb.8:                                ;   in Loop: Header=BB4_6 Depth=1
	ds_write_b32 v30, v29 offset:24
	s_and_b64 exec, exec, s[20:21]
	s_cbranch_execz .LBB4_15
; %bb.9:                                ;   in Loop: Header=BB4_6 Depth=1
	ds_write_b32 v30, v29 offset:48
	s_and_b64 exec, exec, s[22:23]
	s_cbranch_execz .LBB4_15
; %bb.10:                               ;   in Loop: Header=BB4_6 Depth=1
	ds_write_b32 v30, v29 offset:72
	s_and_b64 exec, exec, s[24:25]
	s_cbranch_execz .LBB4_15
; %bb.11:                               ;   in Loop: Header=BB4_6 Depth=1
	;; [unrolled: 4-line block ×4, first 2 shown]
	ds_write_b32 v30, v29 offset:144
	s_and_b64 exec, exec, s[0:1]
; %bb.14:                               ;   in Loop: Header=BB4_6 Depth=1
	ds_write_b32 v30, v29 offset:168
.LBB4_15:                               ;   in Loop: Header=BB4_6 Depth=1
	s_or_b64 exec, exec, s[28:29]
	s_waitcnt vmcnt(3)
	v_and_b32_e32 v17, 0xffff, v13
	v_lshrrev_b32_e32 v18, s7, v17
	v_bfe_u32 v17, v17, s7, 3
	v_lshrrev_b32_e32 v18, 2, v18
	v_mad_u32_u24 v17, v17, 6, v0
	v_and_b32_e32 v18, 2, v18
	v_lshl_or_b32 v49, v17, 2, v18
	ds_read_u16 v47, v49
	v_lshrrev_b32_e32 v31, 16, v13
	v_bfe_u32 v17, v31, s7, 3
	v_mad_u32_u24 v17, v17, 6, v0
	v_lshrrev_b32_e32 v32, 16, v14
	s_waitcnt lgkmcnt(0)
	v_add_u16_e32 v18, 1, v47
	ds_write_b16 v49, v18
	v_lshrrev_b32_e32 v18, s7, v31
	v_lshrrev_b32_e32 v18, 2, v18
	v_and_b32_e32 v18, 2, v18
	v_lshl_or_b32 v51, v17, 2, v18
	ds_read_u16 v48, v51
	v_lshrrev_b32_e32 v33, 16, v15
	v_lshrrev_b32_e32 v34, 16, v16
	s_waitcnt vmcnt(2)
	v_lshrrev_b32_e32 v35, 16, v9
	v_lshrrev_b32_e32 v36, 16, v10
	s_waitcnt lgkmcnt(0)
	v_add_u16_e32 v17, 1, v48
	ds_write_b16 v51, v17
	v_and_b32_e32 v17, 0xffff, v14
	v_lshrrev_b32_e32 v18, s7, v17
	v_bfe_u32 v17, v17, s7, 3
	v_lshrrev_b32_e32 v18, 2, v18
	v_mad_u32_u24 v17, v17, 6, v0
	v_and_b32_e32 v18, 2, v18
	v_lshl_or_b32 v53, v17, 2, v18
	ds_read_u16 v50, v53
	v_lshrrev_b32_e32 v18, s7, v32
	v_lshrrev_b32_e32 v18, 2, v18
	v_and_b32_e32 v18, 2, v18
	v_lshrrev_b32_e32 v37, 16, v11
	s_waitcnt lgkmcnt(0)
	v_add_u16_e32 v17, 1, v50
	ds_write_b16 v53, v17
	v_bfe_u32 v17, v32, s7, 3
	v_mad_u32_u24 v17, v17, 6, v0
	v_lshl_or_b32 v55, v17, 2, v18
	ds_read_u16 v52, v55
	v_lshrrev_b32_e32 v38, 16, v12
	s_waitcnt vmcnt(1)
	v_lshrrev_b32_e32 v39, 16, v5
	v_lshrrev_b32_e32 v40, 16, v6
	;; [unrolled: 1-line block ×3, first 2 shown]
	s_waitcnt lgkmcnt(0)
	v_add_u16_e32 v17, 1, v52
	ds_write_b16 v55, v17
	v_and_b32_e32 v17, 0xffff, v15
	v_lshrrev_b32_e32 v18, s7, v17
	v_bfe_u32 v17, v17, s7, 3
	v_lshrrev_b32_e32 v18, 2, v18
	v_mad_u32_u24 v17, v17, 6, v0
	v_and_b32_e32 v18, 2, v18
	v_lshl_or_b32 v56, v17, 2, v18
	ds_read_u16 v54, v56
	v_lshrrev_b32_e32 v18, s7, v33
	v_lshrrev_b32_e32 v18, 2, v18
	v_and_b32_e32 v18, 2, v18
	v_lshrrev_b32_e32 v42, 16, v8
	s_waitcnt lgkmcnt(0)
	v_add_u16_e32 v17, 1, v54
	ds_write_b16 v56, v17
	v_bfe_u32 v17, v33, s7, 3
	v_mad_u32_u24 v17, v17, 6, v0
	v_lshl_or_b32 v58, v17, 2, v18
	ds_read_u16 v57, v58
	s_waitcnt vmcnt(0)
	v_lshrrev_b32_e32 v43, 16, v1
	v_lshrrev_b32_e32 v44, 16, v2
	;; [unrolled: 1-line block ×4, first 2 shown]
	s_waitcnt lgkmcnt(0)
	v_add_u16_e32 v17, 1, v57
	ds_write_b16 v58, v17
	v_and_b32_e32 v17, 0xffff, v16
	v_lshrrev_b32_e32 v18, s7, v17
	v_bfe_u32 v17, v17, s7, 3
	v_lshrrev_b32_e32 v18, 2, v18
	v_mad_u32_u24 v17, v17, 6, v0
	v_and_b32_e32 v18, 2, v18
	v_lshl_or_b32 v64, v17, 2, v18
	ds_read_u16 v59, v64
	v_lshrrev_b32_e32 v18, s7, v34
	v_lshrrev_b32_e32 v18, 2, v18
	v_and_b32_e32 v18, 2, v18
	s_waitcnt lgkmcnt(0)
	v_add_u16_e32 v17, 1, v59
	ds_write_b16 v64, v17
	v_bfe_u32 v17, v34, s7, 3
	v_mad_u32_u24 v17, v17, 6, v0
	v_lshl_or_b32 v71, v17, 2, v18
	ds_read_u16 v67, v71
	s_waitcnt lgkmcnt(0)
	v_add_u16_e32 v17, 1, v67
	ds_write_b16 v71, v17
	v_and_b32_e32 v17, 0xffff, v9
	v_lshrrev_b32_e32 v18, s7, v17
	v_bfe_u32 v17, v17, s7, 3
	v_lshrrev_b32_e32 v18, 2, v18
	v_mad_u32_u24 v17, v17, 6, v0
	v_and_b32_e32 v18, 2, v18
	v_lshl_or_b32 v73, v17, 2, v18
	ds_read_u16 v61, v73
	v_lshrrev_b32_e32 v18, s7, v35
	v_lshrrev_b32_e32 v18, 2, v18
	v_and_b32_e32 v18, 2, v18
	s_waitcnt lgkmcnt(0)
	v_add_u16_e32 v17, 1, v61
	ds_write_b16 v73, v17
	v_bfe_u32 v17, v35, s7, 3
	v_mad_u32_u24 v17, v17, 6, v0
	v_lshl_or_b32 v78, v17, 2, v18
	ds_read_u16 v69, v78
	;; [unrolled: 21-line block ×13, first 2 shown]
	s_waitcnt lgkmcnt(0)
	v_add_u16_e32 v17, 1, v124
	ds_write_b16 v125, v17
	s_waitcnt lgkmcnt(0)
	; wave barrier
	ds_read2_b64 v[21:24], v26 offset1:1
	ds_read2_b64 v[17:20], v26 offset0:2 offset1:3
	s_waitcnt lgkmcnt(1)
	v_add_u32_e32 v60, v22, v21
	v_add3_u32 v60, v60, v23, v24
	s_waitcnt lgkmcnt(0)
	v_add3_u32 v60, v60, v17, v18
	v_add3_u32 v20, v60, v19, v20
	s_nop 1
	v_mov_b32_dpp v60, v20 row_shr:1 row_mask:0xf bank_mask:0xf
	v_cndmask_b32_e64 v60, v60, 0, s[8:9]
	v_add_u32_e32 v20, v60, v20
	s_nop 1
	v_mov_b32_dpp v60, v20 row_shr:2 row_mask:0xf bank_mask:0xf
	v_cndmask_b32_e64 v60, 0, v60, s[10:11]
	v_add_u32_e32 v20, v20, v60
	;; [unrolled: 4-line block ×3, first 2 shown]
	s_and_saveexec_b64 s[28:29], s[14:15]
; %bb.16:                               ;   in Loop: Header=BB4_6 Depth=1
	ds_write_b32 v29, v60 offset:192
; %bb.17:                               ;   in Loop: Header=BB4_6 Depth=1
	s_or_b64 exec, exec, s[28:29]
	ds_bpermute_b32 v126, v28, v60
	s_waitcnt lgkmcnt(0)
	; wave barrier
	ds_read_b32 v127, v29 offset:192
	v_mov_b32_e32 v84, v13
	v_cndmask_b32_e64 v126, v126, 0, s[16:17]
	v_mov_b32_e32 v82, v14
	v_mov_b32_e32 v80, v15
	s_waitcnt lgkmcnt(0)
	v_lshl_add_u32 v126, v127, 16, v126
	v_add_u32_e32 v127, v126, v21
	v_add_u32_e32 v21, v127, v22
	v_add_u32_e32 v22, v21, v23
	v_add_u32_e32 v23, v22, v24
	v_add_u32_e32 v24, v23, v17
	v_add_u32_e32 v17, v24, v18
	v_add_u32_e32 v18, v17, v19
	ds_write2_b64 v26, v[126:127], v[21:22] offset1:1
	ds_write2_b64 v26, v[23:24], v[17:18] offset0:2 offset1:3
	s_waitcnt lgkmcnt(0)
	; wave barrier
	ds_read_u16 v17, v49
	ds_read_u16 v18, v51
	;; [unrolled: 1-line block ×8, first 2 shown]
	s_waitcnt lgkmcnt(6)
	v_add_u32_sdwa v24, v18, v48 dst_sel:DWORD dst_unused:UNUSED_PAD src0_sel:DWORD src1_sel:WORD_0
	s_waitcnt lgkmcnt(5)
	v_add_u32_sdwa v23, v19, v50 dst_sel:DWORD dst_unused:UNUSED_PAD src0_sel:DWORD src1_sel:WORD_0
	;; [unrolled: 2-line block ×6, first 2 shown]
	ds_read_u16 v48, v73
	ds_read_u16 v49, v78
	ds_read_u16 v50, v83
	ds_read_u16 v51, v86
	ds_read_u16 v56, v87
	ds_read_u16 v57, v89
	ds_read_u16 v58, v92
	ds_read_u16 v59, v95
	v_add_u32_sdwa v47, v17, v47 dst_sel:DWORD dst_unused:UNUSED_PAD src0_sel:DWORD src1_sel:WORD_0
	s_waitcnt lgkmcnt(8)
	v_add_u32_sdwa v17, v55, v67 dst_sel:DWORD dst_unused:UNUSED_PAD src0_sel:DWORD src1_sel:WORD_0
	s_waitcnt lgkmcnt(7)
	;; [unrolled: 2-line block ×9, first 2 shown]
	v_add_u32_sdwa v48, v59, v93 dst_sel:DWORD dst_unused:UNUSED_PAD src0_sel:DWORD src1_sel:WORD_0
	ds_read_u16 v56, v96
	ds_read_u16 v57, v98
	;; [unrolled: 1-line block ×8, first 2 shown]
	s_waitcnt lgkmcnt(7)
	v_add_u32_sdwa v69, v56, v91 dst_sel:DWORD dst_unused:UNUSED_PAD src0_sel:DWORD src1_sel:WORD_0
	s_waitcnt lgkmcnt(6)
	v_add_u32_sdwa v67, v57, v94 dst_sel:DWORD dst_unused:UNUSED_PAD src0_sel:DWORD src1_sel:WORD_0
	;; [unrolled: 2-line block ×8, first 2 shown]
	ds_read_u16 v71, v112
	ds_read_u16 v73, v114
	;; [unrolled: 1-line block ×8, first 2 shown]
	v_mov_b32_e32 v79, v16
	v_mov_b32_e32 v77, v9
	;; [unrolled: 1-line block ×13, first 2 shown]
	s_waitcnt lgkmcnt(7)
	v_add_u32_sdwa v86, v71, v107 dst_sel:DWORD dst_unused:UNUSED_PAD src0_sel:DWORD src1_sel:WORD_0
	s_waitcnt lgkmcnt(6)
	v_add_u32_sdwa v85, v73, v110 dst_sel:DWORD dst_unused:UNUSED_PAD src0_sel:DWORD src1_sel:WORD_0
	;; [unrolled: 2-line block ×8, first 2 shown]
	s_cmp_gt_u32 s7, 11
	s_mov_b64 s[28:29], -1
	s_cbranch_scc1 .LBB4_5
; %bb.18:                               ;   in Loop: Header=BB4_6 Depth=1
	v_lshlrev_b32_e32 v87, 1, v47
	; wave barrier
	ds_write_b16 v87, v13
	v_lshlrev_b32_e32 v13, 1, v24
	ds_write_b16 v13, v31
	v_lshlrev_b32_e32 v13, 1, v23
	;; [unrolled: 2-line block ×31, first 2 shown]
	ds_write_b16 v1, v46
	s_waitcnt lgkmcnt(0)
	; wave barrier
	ds_read2_b64 v[13:16], v27 offset1:1
	ds_read2_b64 v[9:12], v27 offset0:2 offset1:3
	ds_read2_b64 v[5:8], v27 offset0:4 offset1:5
	;; [unrolled: 1-line block ×3, first 2 shown]
	s_add_i32 s7, s7, 4
	s_mov_b64 s[28:29], 0
	s_waitcnt lgkmcnt(0)
	; wave barrier
	s_branch .LBB4_5
.LBB4_19:
	v_lshlrev_b32_e32 v1, 1, v47
	; wave barrier
	ds_write_b16 v1, v84
	v_lshlrev_b32_e32 v1, 1, v24
	ds_write_b16 v1, v31
	v_lshlrev_b32_e32 v1, 1, v23
	;; [unrolled: 2-line block ×31, first 2 shown]
	ds_write_b16 v1, v46
	s_waitcnt lgkmcnt(0)
	; wave barrier
	ds_read2_b64 v[1:4], v27 offset1:1
	ds_read2_b64 v[5:8], v27 offset0:2 offset1:3
	ds_read2_b64 v[9:12], v27 offset0:4 offset1:5
	;; [unrolled: 1-line block ×3, first 2 shown]
	s_waitcnt lgkmcnt(0)
	; wave barrier
	s_and_saveexec_b64 s[8:9], s[4:5]
	s_cbranch_execz .LBB4_23
; %bb.20:
	v_lshlrev_b32_e32 v17, 2, v0
	v_mov_b32_e32 v18, 0xc0
	ds_write2_b32 v17, v18, v18 offset0:6 offset1:24
	s_and_b64 exec, exec, s[2:3]
	s_cbranch_execz .LBB4_23
; %bb.21:
	ds_write2_b32 v17, v18, v18 offset0:12 offset1:30
	s_and_saveexec_b64 s[10:11], s[0:1]
	s_xor_b64 s[10:11], exec, s[10:11]
; %bb.22:
	v_mov_b32_e32 v18, 0xc0
	ds_write2_b32 v17, v18, v18 offset0:18 offset1:36
.LBB4_23:
	s_or_b64 exec, exec, s[8:9]
	v_lshrrev_b32_e32 v17, 16, v16
	v_cmp_ne_u16_e32 vcc, v16, v17
	s_waitcnt lgkmcnt(0)
	; wave barrier
	ds_write_b16 v25, v17
	s_and_saveexec_b64 s[8:9], vcc
	s_cbranch_execnz .LBB4_70
; %bb.24:
	s_or_b64 exec, exec, s[8:9]
	v_cmp_ne_u16_sdwa s[10:11], v15, v16 src0_sel:WORD_1 src1_sel:WORD_0
	s_and_saveexec_b64 s[8:9], s[10:11]
	s_cbranch_execnz .LBB4_71
.LBB4_25:
	s_or_b64 exec, exec, s[8:9]
	v_cmp_ne_u16_sdwa s[10:11], v15, v15 src0_sel:DWORD src1_sel:WORD_1
	s_and_saveexec_b64 s[8:9], s[10:11]
	s_cbranch_execnz .LBB4_72
.LBB4_26:
	s_or_b64 exec, exec, s[8:9]
	v_cmp_ne_u16_sdwa s[10:11], v14, v15 src0_sel:WORD_1 src1_sel:WORD_0
	s_and_saveexec_b64 s[8:9], s[10:11]
	s_cbranch_execnz .LBB4_73
.LBB4_27:
	s_or_b64 exec, exec, s[8:9]
	v_cmp_ne_u16_sdwa s[10:11], v14, v14 src0_sel:DWORD src1_sel:WORD_1
	s_and_saveexec_b64 s[8:9], s[10:11]
	s_cbranch_execnz .LBB4_74
.LBB4_28:
	s_or_b64 exec, exec, s[8:9]
	v_cmp_ne_u16_sdwa s[10:11], v13, v14 src0_sel:WORD_1 src1_sel:WORD_0
	s_and_saveexec_b64 s[8:9], s[10:11]
	s_cbranch_execnz .LBB4_75
.LBB4_29:
	s_or_b64 exec, exec, s[8:9]
	v_cmp_ne_u16_sdwa s[10:11], v13, v13 src0_sel:DWORD src1_sel:WORD_1
	s_and_saveexec_b64 s[8:9], s[10:11]
	s_cbranch_execnz .LBB4_76
.LBB4_30:
	s_or_b64 exec, exec, s[8:9]
	v_cmp_ne_u16_sdwa s[10:11], v12, v13 src0_sel:WORD_1 src1_sel:WORD_0
	s_and_saveexec_b64 s[8:9], s[10:11]
	s_cbranch_execnz .LBB4_77
.LBB4_31:
	s_or_b64 exec, exec, s[8:9]
	v_cmp_ne_u16_sdwa s[10:11], v12, v12 src0_sel:DWORD src1_sel:WORD_1
	s_and_saveexec_b64 s[8:9], s[10:11]
	s_cbranch_execnz .LBB4_78
.LBB4_32:
	s_or_b64 exec, exec, s[8:9]
	v_cmp_ne_u16_sdwa s[10:11], v11, v12 src0_sel:WORD_1 src1_sel:WORD_0
	s_and_saveexec_b64 s[8:9], s[10:11]
	s_cbranch_execnz .LBB4_79
.LBB4_33:
	s_or_b64 exec, exec, s[8:9]
	v_cmp_ne_u16_sdwa s[10:11], v11, v11 src0_sel:DWORD src1_sel:WORD_1
	s_and_saveexec_b64 s[8:9], s[10:11]
	s_cbranch_execnz .LBB4_80
.LBB4_34:
	s_or_b64 exec, exec, s[8:9]
	v_cmp_ne_u16_sdwa s[10:11], v10, v11 src0_sel:WORD_1 src1_sel:WORD_0
	s_and_saveexec_b64 s[8:9], s[10:11]
	s_cbranch_execnz .LBB4_81
.LBB4_35:
	s_or_b64 exec, exec, s[8:9]
	v_cmp_ne_u16_sdwa s[10:11], v10, v10 src0_sel:DWORD src1_sel:WORD_1
	s_and_saveexec_b64 s[8:9], s[10:11]
	s_cbranch_execnz .LBB4_82
.LBB4_36:
	s_or_b64 exec, exec, s[8:9]
	v_cmp_ne_u16_sdwa s[10:11], v9, v10 src0_sel:WORD_1 src1_sel:WORD_0
	s_and_saveexec_b64 s[8:9], s[10:11]
	s_cbranch_execnz .LBB4_83
.LBB4_37:
	s_or_b64 exec, exec, s[8:9]
	v_cmp_ne_u16_sdwa s[10:11], v9, v9 src0_sel:DWORD src1_sel:WORD_1
	s_and_saveexec_b64 s[8:9], s[10:11]
	s_cbranch_execnz .LBB4_84
.LBB4_38:
	s_or_b64 exec, exec, s[8:9]
	v_cmp_ne_u16_sdwa s[10:11], v8, v9 src0_sel:WORD_1 src1_sel:WORD_0
	s_and_saveexec_b64 s[8:9], s[10:11]
	s_cbranch_execnz .LBB4_85
.LBB4_39:
	s_or_b64 exec, exec, s[8:9]
	v_cmp_ne_u16_sdwa s[10:11], v8, v8 src0_sel:DWORD src1_sel:WORD_1
	s_and_saveexec_b64 s[8:9], s[10:11]
	s_cbranch_execnz .LBB4_86
.LBB4_40:
	s_or_b64 exec, exec, s[8:9]
	v_cmp_ne_u16_sdwa s[10:11], v7, v8 src0_sel:WORD_1 src1_sel:WORD_0
	s_and_saveexec_b64 s[8:9], s[10:11]
	s_cbranch_execnz .LBB4_87
.LBB4_41:
	s_or_b64 exec, exec, s[8:9]
	v_cmp_ne_u16_sdwa s[10:11], v7, v7 src0_sel:DWORD src1_sel:WORD_1
	s_and_saveexec_b64 s[8:9], s[10:11]
	s_cbranch_execnz .LBB4_88
.LBB4_42:
	s_or_b64 exec, exec, s[8:9]
	v_cmp_ne_u16_sdwa s[10:11], v6, v7 src0_sel:WORD_1 src1_sel:WORD_0
	s_and_saveexec_b64 s[8:9], s[10:11]
	s_cbranch_execnz .LBB4_89
.LBB4_43:
	s_or_b64 exec, exec, s[8:9]
	v_cmp_ne_u16_sdwa s[10:11], v6, v6 src0_sel:DWORD src1_sel:WORD_1
	s_and_saveexec_b64 s[8:9], s[10:11]
	s_cbranch_execnz .LBB4_90
.LBB4_44:
	s_or_b64 exec, exec, s[8:9]
	v_cmp_ne_u16_sdwa s[10:11], v5, v6 src0_sel:WORD_1 src1_sel:WORD_0
	s_and_saveexec_b64 s[8:9], s[10:11]
	s_cbranch_execnz .LBB4_91
.LBB4_45:
	s_or_b64 exec, exec, s[8:9]
	v_cmp_ne_u16_sdwa s[10:11], v5, v5 src0_sel:DWORD src1_sel:WORD_1
	s_and_saveexec_b64 s[8:9], s[10:11]
	s_cbranch_execnz .LBB4_92
.LBB4_46:
	s_or_b64 exec, exec, s[8:9]
	v_cmp_ne_u16_sdwa s[10:11], v4, v5 src0_sel:WORD_1 src1_sel:WORD_0
	s_and_saveexec_b64 s[8:9], s[10:11]
	s_cbranch_execnz .LBB4_93
.LBB4_47:
	s_or_b64 exec, exec, s[8:9]
	v_cmp_ne_u16_sdwa s[10:11], v4, v4 src0_sel:DWORD src1_sel:WORD_1
	s_and_saveexec_b64 s[8:9], s[10:11]
	s_cbranch_execnz .LBB4_94
.LBB4_48:
	s_or_b64 exec, exec, s[8:9]
	v_cmp_ne_u16_sdwa s[10:11], v3, v4 src0_sel:WORD_1 src1_sel:WORD_0
	s_and_saveexec_b64 s[8:9], s[10:11]
	s_cbranch_execnz .LBB4_95
.LBB4_49:
	s_or_b64 exec, exec, s[8:9]
	v_cmp_ne_u16_sdwa s[10:11], v3, v3 src0_sel:DWORD src1_sel:WORD_1
	s_and_saveexec_b64 s[8:9], s[10:11]
	s_cbranch_execnz .LBB4_96
.LBB4_50:
	s_or_b64 exec, exec, s[8:9]
	v_cmp_ne_u16_sdwa s[10:11], v2, v3 src0_sel:WORD_1 src1_sel:WORD_0
	s_and_saveexec_b64 s[8:9], s[10:11]
	s_cbranch_execnz .LBB4_97
.LBB4_51:
	s_or_b64 exec, exec, s[8:9]
	v_cmp_ne_u16_sdwa s[10:11], v2, v2 src0_sel:DWORD src1_sel:WORD_1
	s_and_saveexec_b64 s[8:9], s[10:11]
	s_cbranch_execnz .LBB4_98
.LBB4_52:
	s_or_b64 exec, exec, s[8:9]
	v_cmp_ne_u16_sdwa s[10:11], v1, v2 src0_sel:WORD_1 src1_sel:WORD_0
	s_and_saveexec_b64 s[8:9], s[10:11]
	s_cbranch_execnz .LBB4_99
.LBB4_53:
	s_or_b64 exec, exec, s[8:9]
	v_cmp_ne_u16_sdwa s[10:11], v1, v1 src0_sel:DWORD src1_sel:WORD_1
	s_and_saveexec_b64 s[8:9], s[10:11]
	s_cbranch_execz .LBB4_55
.LBB4_54:
	v_mov_b32_e32 v2, 2
	v_lshlrev_b32_sdwa v3, v2, v1 dst_sel:DWORD dst_unused:UNUSED_PAD src0_sel:DWORD src1_sel:WORD_0
	v_lshlrev_b32_sdwa v2, v2, v1 dst_sel:DWORD dst_unused:UNUSED_PAD src0_sel:DWORD src1_sel:WORD_1
	v_or_b32_e32 v4, 1, v26
	ds_write_b32 v2, v4 offset:24
	ds_write_b32 v3, v4 offset:96
.LBB4_55:
	s_or_b64 exec, exec, s[8:9]
	v_cmp_eq_u32_e32 vcc, 0, v0
	v_cmp_ne_u32_e64 s[8:9], 0, v0
	s_waitcnt lgkmcnt(0)
	; wave barrier
	s_and_saveexec_b64 s[10:11], s[8:9]
	s_cbranch_execz .LBB4_58
; %bb.56:
	v_add_u32_e32 v2, -2, v25
	ds_read_u16 v3, v2
	s_waitcnt lgkmcnt(0)
	v_cmp_ne_u16_sdwa s[8:9], v3, v1 src0_sel:DWORD src1_sel:WORD_0
	s_and_b64 exec, exec, s[8:9]
	s_cbranch_execz .LBB4_58
; %bb.57:
	v_mov_b32_e32 v3, 2
	v_lshlrev_b32_sdwa v3, v3, v1 dst_sel:DWORD dst_unused:UNUSED_PAD src0_sel:DWORD src1_sel:WORD_0
	ds_write_b32 v3, v26 offset:24
	ds_read_u16 v2, v2
	s_waitcnt lgkmcnt(0)
	v_lshlrev_b32_e32 v2, 2, v2
	ds_write_b32 v2, v26 offset:96
.LBB4_58:
	s_or_b64 exec, exec, s[10:11]
	s_waitcnt lgkmcnt(0)
	; wave barrier
	s_and_saveexec_b64 s[8:9], vcc
; %bb.59:
	v_mov_b32_e32 v2, 2
	v_lshlrev_b32_sdwa v1, v2, v1 dst_sel:DWORD dst_unused:UNUSED_PAD src0_sel:DWORD src1_sel:WORD_0
	v_mov_b32_e32 v2, 0
	ds_write_b32 v1, v2 offset:24
; %bb.60:
	s_or_b64 exec, exec, s[8:9]
	s_waitcnt lgkmcnt(0)
	; wave barrier
	s_and_saveexec_b64 s[8:9], s[4:5]
	s_cbranch_execnz .LBB4_100
; %bb.61:
	s_or_b64 exec, exec, s[8:9]
	s_and_saveexec_b64 s[8:9], s[2:3]
	s_cbranch_execnz .LBB4_101
.LBB4_62:
	s_or_b64 exec, exec, s[8:9]
	s_and_saveexec_b64 s[8:9], s[0:1]
	s_cbranch_execz .LBB4_64
.LBB4_63:
	v_add_u32_e32 v1, v25, v25
	ds_read2_b32 v[1:2], v1 offset0:18 offset1:36
	ds_read_u16 v3, v25 offset:408
	s_waitcnt lgkmcnt(1)
	v_sub_u32_e32 v1, v2, v1
	s_waitcnt lgkmcnt(0)
	v_add_u16_e32 v1, v3, v1
	ds_write_b16 v25, v1 offset:408
.LBB4_64:
	s_or_b64 exec, exec, s[8:9]
	s_mul_i32 s8, s6, 18
	v_mov_b32_e32 v1, s8
	s_waitcnt lgkmcnt(0)
	; wave barrier
	s_and_saveexec_b64 s[6:7], s[4:5]
	s_cbranch_execnz .LBB4_102
; %bb.65:
	s_or_b64 exec, exec, s[6:7]
	s_and_saveexec_b64 s[4:5], s[2:3]
	s_cbranch_execnz .LBB4_103
.LBB4_66:
	s_or_b64 exec, exec, s[4:5]
	s_and_saveexec_b64 s[2:3], s[0:1]
	s_cbranch_execnz .LBB4_104
.LBB4_67:
	s_endpgm
.LBB4_68:
	ds_write_b16 v25, v17 offset:384
	s_or_b64 exec, exec, s[0:1]
	v_cmp_gt_u32_e64 s[2:3], 12, v0
	s_and_saveexec_b64 s[0:1], s[2:3]
	s_cbranch_execz .LBB4_2
.LBB4_69:
	v_mov_b32_e32 v17, 0
	ds_write_b16 v25, v17 offset:396
	s_or_b64 exec, exec, s[0:1]
	v_cmp_gt_u32_e64 s[0:1], 6, v0
	s_and_saveexec_b64 s[8:9], s[0:1]
	s_cbranch_execnz .LBB4_3
	s_branch .LBB4_4
.LBB4_70:
	v_mov_b32_e32 v18, 2
	v_lshlrev_b32_sdwa v19, v18, v16 dst_sel:DWORD dst_unused:UNUSED_PAD src0_sel:DWORD src1_sel:WORD_0
	v_lshlrev_b32_sdwa v17, v18, v17 dst_sel:DWORD dst_unused:UNUSED_PAD src0_sel:DWORD src1_sel:WORD_0
	v_or_b32_e32 v18, 31, v26
	ds_write_b32 v17, v18 offset:24
	ds_write_b32 v19, v18 offset:96
	s_or_b64 exec, exec, s[8:9]
	v_cmp_ne_u16_sdwa s[10:11], v15, v16 src0_sel:WORD_1 src1_sel:WORD_0
	s_and_saveexec_b64 s[8:9], s[10:11]
	s_cbranch_execz .LBB4_25
.LBB4_71:
	v_mov_b32_e32 v17, 2
	v_lshlrev_b32_sdwa v18, v17, v15 dst_sel:DWORD dst_unused:UNUSED_PAD src0_sel:DWORD src1_sel:WORD_1
	v_lshlrev_b32_sdwa v16, v17, v16 dst_sel:DWORD dst_unused:UNUSED_PAD src0_sel:DWORD src1_sel:WORD_0
	v_or_b32_e32 v17, 30, v26
	ds_write_b32 v16, v17 offset:24
	ds_write_b32 v18, v17 offset:96
	s_or_b64 exec, exec, s[8:9]
	v_cmp_ne_u16_sdwa s[10:11], v15, v15 src0_sel:DWORD src1_sel:WORD_1
	s_and_saveexec_b64 s[8:9], s[10:11]
	s_cbranch_execz .LBB4_26
.LBB4_72:
	v_mov_b32_e32 v16, 2
	v_lshlrev_b32_sdwa v17, v16, v15 dst_sel:DWORD dst_unused:UNUSED_PAD src0_sel:DWORD src1_sel:WORD_0
	v_lshlrev_b32_sdwa v16, v16, v15 dst_sel:DWORD dst_unused:UNUSED_PAD src0_sel:DWORD src1_sel:WORD_1
	v_or_b32_e32 v18, 29, v26
	ds_write_b32 v16, v18 offset:24
	ds_write_b32 v17, v18 offset:96
	s_or_b64 exec, exec, s[8:9]
	v_cmp_ne_u16_sdwa s[10:11], v14, v15 src0_sel:WORD_1 src1_sel:WORD_0
	s_and_saveexec_b64 s[8:9], s[10:11]
	s_cbranch_execz .LBB4_27
.LBB4_73:
	v_mov_b32_e32 v16, 2
	v_lshlrev_b32_sdwa v17, v16, v14 dst_sel:DWORD dst_unused:UNUSED_PAD src0_sel:DWORD src1_sel:WORD_1
	v_lshlrev_b32_sdwa v15, v16, v15 dst_sel:DWORD dst_unused:UNUSED_PAD src0_sel:DWORD src1_sel:WORD_0
	v_or_b32_e32 v16, 28, v26
	ds_write_b32 v15, v16 offset:24
	ds_write_b32 v17, v16 offset:96
	s_or_b64 exec, exec, s[8:9]
	v_cmp_ne_u16_sdwa s[10:11], v14, v14 src0_sel:DWORD src1_sel:WORD_1
	s_and_saveexec_b64 s[8:9], s[10:11]
	s_cbranch_execz .LBB4_28
.LBB4_74:
	v_mov_b32_e32 v15, 2
	v_lshlrev_b32_sdwa v16, v15, v14 dst_sel:DWORD dst_unused:UNUSED_PAD src0_sel:DWORD src1_sel:WORD_0
	v_lshlrev_b32_sdwa v15, v15, v14 dst_sel:DWORD dst_unused:UNUSED_PAD src0_sel:DWORD src1_sel:WORD_1
	v_or_b32_e32 v17, 27, v26
	ds_write_b32 v15, v17 offset:24
	ds_write_b32 v16, v17 offset:96
	s_or_b64 exec, exec, s[8:9]
	v_cmp_ne_u16_sdwa s[10:11], v13, v14 src0_sel:WORD_1 src1_sel:WORD_0
	s_and_saveexec_b64 s[8:9], s[10:11]
	s_cbranch_execz .LBB4_29
.LBB4_75:
	v_mov_b32_e32 v15, 2
	v_lshlrev_b32_sdwa v16, v15, v13 dst_sel:DWORD dst_unused:UNUSED_PAD src0_sel:DWORD src1_sel:WORD_1
	v_lshlrev_b32_sdwa v14, v15, v14 dst_sel:DWORD dst_unused:UNUSED_PAD src0_sel:DWORD src1_sel:WORD_0
	v_or_b32_e32 v15, 26, v26
	ds_write_b32 v14, v15 offset:24
	ds_write_b32 v16, v15 offset:96
	s_or_b64 exec, exec, s[8:9]
	v_cmp_ne_u16_sdwa s[10:11], v13, v13 src0_sel:DWORD src1_sel:WORD_1
	s_and_saveexec_b64 s[8:9], s[10:11]
	s_cbranch_execz .LBB4_30
.LBB4_76:
	v_mov_b32_e32 v14, 2
	v_lshlrev_b32_sdwa v15, v14, v13 dst_sel:DWORD dst_unused:UNUSED_PAD src0_sel:DWORD src1_sel:WORD_0
	v_lshlrev_b32_sdwa v14, v14, v13 dst_sel:DWORD dst_unused:UNUSED_PAD src0_sel:DWORD src1_sel:WORD_1
	v_or_b32_e32 v16, 25, v26
	ds_write_b32 v14, v16 offset:24
	ds_write_b32 v15, v16 offset:96
	s_or_b64 exec, exec, s[8:9]
	v_cmp_ne_u16_sdwa s[10:11], v12, v13 src0_sel:WORD_1 src1_sel:WORD_0
	s_and_saveexec_b64 s[8:9], s[10:11]
	s_cbranch_execz .LBB4_31
.LBB4_77:
	v_mov_b32_e32 v14, 2
	v_lshlrev_b32_sdwa v15, v14, v12 dst_sel:DWORD dst_unused:UNUSED_PAD src0_sel:DWORD src1_sel:WORD_1
	v_lshlrev_b32_sdwa v13, v14, v13 dst_sel:DWORD dst_unused:UNUSED_PAD src0_sel:DWORD src1_sel:WORD_0
	v_or_b32_e32 v14, 24, v26
	ds_write_b32 v13, v14 offset:24
	ds_write_b32 v15, v14 offset:96
	s_or_b64 exec, exec, s[8:9]
	v_cmp_ne_u16_sdwa s[10:11], v12, v12 src0_sel:DWORD src1_sel:WORD_1
	s_and_saveexec_b64 s[8:9], s[10:11]
	s_cbranch_execz .LBB4_32
.LBB4_78:
	v_mov_b32_e32 v13, 2
	v_lshlrev_b32_sdwa v14, v13, v12 dst_sel:DWORD dst_unused:UNUSED_PAD src0_sel:DWORD src1_sel:WORD_0
	v_lshlrev_b32_sdwa v13, v13, v12 dst_sel:DWORD dst_unused:UNUSED_PAD src0_sel:DWORD src1_sel:WORD_1
	v_or_b32_e32 v15, 23, v26
	ds_write_b32 v13, v15 offset:24
	ds_write_b32 v14, v15 offset:96
	s_or_b64 exec, exec, s[8:9]
	v_cmp_ne_u16_sdwa s[10:11], v11, v12 src0_sel:WORD_1 src1_sel:WORD_0
	s_and_saveexec_b64 s[8:9], s[10:11]
	s_cbranch_execz .LBB4_33
.LBB4_79:
	v_mov_b32_e32 v13, 2
	v_lshlrev_b32_sdwa v14, v13, v11 dst_sel:DWORD dst_unused:UNUSED_PAD src0_sel:DWORD src1_sel:WORD_1
	v_lshlrev_b32_sdwa v12, v13, v12 dst_sel:DWORD dst_unused:UNUSED_PAD src0_sel:DWORD src1_sel:WORD_0
	v_or_b32_e32 v13, 22, v26
	ds_write_b32 v12, v13 offset:24
	ds_write_b32 v14, v13 offset:96
	s_or_b64 exec, exec, s[8:9]
	v_cmp_ne_u16_sdwa s[10:11], v11, v11 src0_sel:DWORD src1_sel:WORD_1
	s_and_saveexec_b64 s[8:9], s[10:11]
	s_cbranch_execz .LBB4_34
.LBB4_80:
	v_mov_b32_e32 v12, 2
	v_lshlrev_b32_sdwa v13, v12, v11 dst_sel:DWORD dst_unused:UNUSED_PAD src0_sel:DWORD src1_sel:WORD_0
	v_lshlrev_b32_sdwa v12, v12, v11 dst_sel:DWORD dst_unused:UNUSED_PAD src0_sel:DWORD src1_sel:WORD_1
	v_or_b32_e32 v14, 21, v26
	ds_write_b32 v12, v14 offset:24
	ds_write_b32 v13, v14 offset:96
	s_or_b64 exec, exec, s[8:9]
	v_cmp_ne_u16_sdwa s[10:11], v10, v11 src0_sel:WORD_1 src1_sel:WORD_0
	s_and_saveexec_b64 s[8:9], s[10:11]
	s_cbranch_execz .LBB4_35
.LBB4_81:
	v_mov_b32_e32 v12, 2
	v_lshlrev_b32_sdwa v13, v12, v10 dst_sel:DWORD dst_unused:UNUSED_PAD src0_sel:DWORD src1_sel:WORD_1
	v_lshlrev_b32_sdwa v11, v12, v11 dst_sel:DWORD dst_unused:UNUSED_PAD src0_sel:DWORD src1_sel:WORD_0
	v_or_b32_e32 v12, 20, v26
	ds_write_b32 v11, v12 offset:24
	ds_write_b32 v13, v12 offset:96
	s_or_b64 exec, exec, s[8:9]
	v_cmp_ne_u16_sdwa s[10:11], v10, v10 src0_sel:DWORD src1_sel:WORD_1
	s_and_saveexec_b64 s[8:9], s[10:11]
	s_cbranch_execz .LBB4_36
.LBB4_82:
	v_mov_b32_e32 v11, 2
	v_lshlrev_b32_sdwa v12, v11, v10 dst_sel:DWORD dst_unused:UNUSED_PAD src0_sel:DWORD src1_sel:WORD_0
	v_lshlrev_b32_sdwa v11, v11, v10 dst_sel:DWORD dst_unused:UNUSED_PAD src0_sel:DWORD src1_sel:WORD_1
	v_or_b32_e32 v13, 19, v26
	ds_write_b32 v11, v13 offset:24
	ds_write_b32 v12, v13 offset:96
	s_or_b64 exec, exec, s[8:9]
	v_cmp_ne_u16_sdwa s[10:11], v9, v10 src0_sel:WORD_1 src1_sel:WORD_0
	s_and_saveexec_b64 s[8:9], s[10:11]
	s_cbranch_execz .LBB4_37
.LBB4_83:
	v_mov_b32_e32 v11, 2
	v_lshlrev_b32_sdwa v12, v11, v9 dst_sel:DWORD dst_unused:UNUSED_PAD src0_sel:DWORD src1_sel:WORD_1
	v_lshlrev_b32_sdwa v10, v11, v10 dst_sel:DWORD dst_unused:UNUSED_PAD src0_sel:DWORD src1_sel:WORD_0
	v_or_b32_e32 v11, 18, v26
	ds_write_b32 v10, v11 offset:24
	ds_write_b32 v12, v11 offset:96
	s_or_b64 exec, exec, s[8:9]
	v_cmp_ne_u16_sdwa s[10:11], v9, v9 src0_sel:DWORD src1_sel:WORD_1
	s_and_saveexec_b64 s[8:9], s[10:11]
	s_cbranch_execz .LBB4_38
.LBB4_84:
	v_mov_b32_e32 v10, 2
	v_lshlrev_b32_sdwa v11, v10, v9 dst_sel:DWORD dst_unused:UNUSED_PAD src0_sel:DWORD src1_sel:WORD_0
	v_lshlrev_b32_sdwa v10, v10, v9 dst_sel:DWORD dst_unused:UNUSED_PAD src0_sel:DWORD src1_sel:WORD_1
	v_or_b32_e32 v12, 17, v26
	ds_write_b32 v10, v12 offset:24
	ds_write_b32 v11, v12 offset:96
	s_or_b64 exec, exec, s[8:9]
	v_cmp_ne_u16_sdwa s[10:11], v8, v9 src0_sel:WORD_1 src1_sel:WORD_0
	s_and_saveexec_b64 s[8:9], s[10:11]
	s_cbranch_execz .LBB4_39
.LBB4_85:
	v_mov_b32_e32 v10, 2
	v_lshlrev_b32_sdwa v11, v10, v8 dst_sel:DWORD dst_unused:UNUSED_PAD src0_sel:DWORD src1_sel:WORD_1
	v_lshlrev_b32_sdwa v9, v10, v9 dst_sel:DWORD dst_unused:UNUSED_PAD src0_sel:DWORD src1_sel:WORD_0
	v_or_b32_e32 v10, 16, v26
	ds_write_b32 v9, v10 offset:24
	ds_write_b32 v11, v10 offset:96
	s_or_b64 exec, exec, s[8:9]
	v_cmp_ne_u16_sdwa s[10:11], v8, v8 src0_sel:DWORD src1_sel:WORD_1
	s_and_saveexec_b64 s[8:9], s[10:11]
	s_cbranch_execz .LBB4_40
.LBB4_86:
	v_mov_b32_e32 v9, 2
	v_lshlrev_b32_sdwa v10, v9, v8 dst_sel:DWORD dst_unused:UNUSED_PAD src0_sel:DWORD src1_sel:WORD_0
	v_lshlrev_b32_sdwa v9, v9, v8 dst_sel:DWORD dst_unused:UNUSED_PAD src0_sel:DWORD src1_sel:WORD_1
	v_or_b32_e32 v11, 15, v26
	ds_write_b32 v9, v11 offset:24
	ds_write_b32 v10, v11 offset:96
	s_or_b64 exec, exec, s[8:9]
	v_cmp_ne_u16_sdwa s[10:11], v7, v8 src0_sel:WORD_1 src1_sel:WORD_0
	s_and_saveexec_b64 s[8:9], s[10:11]
	s_cbranch_execz .LBB4_41
.LBB4_87:
	v_mov_b32_e32 v9, 2
	v_lshlrev_b32_sdwa v10, v9, v7 dst_sel:DWORD dst_unused:UNUSED_PAD src0_sel:DWORD src1_sel:WORD_1
	v_lshlrev_b32_sdwa v8, v9, v8 dst_sel:DWORD dst_unused:UNUSED_PAD src0_sel:DWORD src1_sel:WORD_0
	v_or_b32_e32 v9, 14, v26
	ds_write_b32 v8, v9 offset:24
	ds_write_b32 v10, v9 offset:96
	s_or_b64 exec, exec, s[8:9]
	v_cmp_ne_u16_sdwa s[10:11], v7, v7 src0_sel:DWORD src1_sel:WORD_1
	s_and_saveexec_b64 s[8:9], s[10:11]
	s_cbranch_execz .LBB4_42
.LBB4_88:
	v_mov_b32_e32 v8, 2
	v_lshlrev_b32_sdwa v9, v8, v7 dst_sel:DWORD dst_unused:UNUSED_PAD src0_sel:DWORD src1_sel:WORD_0
	v_lshlrev_b32_sdwa v8, v8, v7 dst_sel:DWORD dst_unused:UNUSED_PAD src0_sel:DWORD src1_sel:WORD_1
	v_or_b32_e32 v10, 13, v26
	ds_write_b32 v8, v10 offset:24
	ds_write_b32 v9, v10 offset:96
	s_or_b64 exec, exec, s[8:9]
	v_cmp_ne_u16_sdwa s[10:11], v6, v7 src0_sel:WORD_1 src1_sel:WORD_0
	s_and_saveexec_b64 s[8:9], s[10:11]
	s_cbranch_execz .LBB4_43
.LBB4_89:
	v_mov_b32_e32 v8, 2
	v_lshlrev_b32_sdwa v9, v8, v6 dst_sel:DWORD dst_unused:UNUSED_PAD src0_sel:DWORD src1_sel:WORD_1
	v_lshlrev_b32_sdwa v7, v8, v7 dst_sel:DWORD dst_unused:UNUSED_PAD src0_sel:DWORD src1_sel:WORD_0
	v_or_b32_e32 v8, 12, v26
	ds_write_b32 v7, v8 offset:24
	ds_write_b32 v9, v8 offset:96
	s_or_b64 exec, exec, s[8:9]
	v_cmp_ne_u16_sdwa s[10:11], v6, v6 src0_sel:DWORD src1_sel:WORD_1
	s_and_saveexec_b64 s[8:9], s[10:11]
	s_cbranch_execz .LBB4_44
.LBB4_90:
	v_mov_b32_e32 v7, 2
	v_lshlrev_b32_sdwa v8, v7, v6 dst_sel:DWORD dst_unused:UNUSED_PAD src0_sel:DWORD src1_sel:WORD_0
	v_lshlrev_b32_sdwa v7, v7, v6 dst_sel:DWORD dst_unused:UNUSED_PAD src0_sel:DWORD src1_sel:WORD_1
	v_or_b32_e32 v9, 11, v26
	ds_write_b32 v7, v9 offset:24
	ds_write_b32 v8, v9 offset:96
	s_or_b64 exec, exec, s[8:9]
	v_cmp_ne_u16_sdwa s[10:11], v5, v6 src0_sel:WORD_1 src1_sel:WORD_0
	s_and_saveexec_b64 s[8:9], s[10:11]
	s_cbranch_execz .LBB4_45
.LBB4_91:
	v_mov_b32_e32 v7, 2
	v_lshlrev_b32_sdwa v8, v7, v5 dst_sel:DWORD dst_unused:UNUSED_PAD src0_sel:DWORD src1_sel:WORD_1
	v_lshlrev_b32_sdwa v6, v7, v6 dst_sel:DWORD dst_unused:UNUSED_PAD src0_sel:DWORD src1_sel:WORD_0
	v_or_b32_e32 v7, 10, v26
	ds_write_b32 v6, v7 offset:24
	ds_write_b32 v8, v7 offset:96
	s_or_b64 exec, exec, s[8:9]
	v_cmp_ne_u16_sdwa s[10:11], v5, v5 src0_sel:DWORD src1_sel:WORD_1
	s_and_saveexec_b64 s[8:9], s[10:11]
	s_cbranch_execz .LBB4_46
.LBB4_92:
	v_mov_b32_e32 v6, 2
	v_lshlrev_b32_sdwa v7, v6, v5 dst_sel:DWORD dst_unused:UNUSED_PAD src0_sel:DWORD src1_sel:WORD_0
	v_lshlrev_b32_sdwa v6, v6, v5 dst_sel:DWORD dst_unused:UNUSED_PAD src0_sel:DWORD src1_sel:WORD_1
	v_or_b32_e32 v8, 9, v26
	ds_write_b32 v6, v8 offset:24
	ds_write_b32 v7, v8 offset:96
	s_or_b64 exec, exec, s[8:9]
	v_cmp_ne_u16_sdwa s[10:11], v4, v5 src0_sel:WORD_1 src1_sel:WORD_0
	s_and_saveexec_b64 s[8:9], s[10:11]
	s_cbranch_execz .LBB4_47
.LBB4_93:
	v_mov_b32_e32 v6, 2
	v_lshlrev_b32_sdwa v7, v6, v4 dst_sel:DWORD dst_unused:UNUSED_PAD src0_sel:DWORD src1_sel:WORD_1
	v_lshlrev_b32_sdwa v5, v6, v5 dst_sel:DWORD dst_unused:UNUSED_PAD src0_sel:DWORD src1_sel:WORD_0
	v_or_b32_e32 v6, 8, v26
	ds_write_b32 v5, v6 offset:24
	ds_write_b32 v7, v6 offset:96
	s_or_b64 exec, exec, s[8:9]
	v_cmp_ne_u16_sdwa s[10:11], v4, v4 src0_sel:DWORD src1_sel:WORD_1
	s_and_saveexec_b64 s[8:9], s[10:11]
	s_cbranch_execz .LBB4_48
.LBB4_94:
	v_mov_b32_e32 v5, 2
	v_lshlrev_b32_sdwa v6, v5, v4 dst_sel:DWORD dst_unused:UNUSED_PAD src0_sel:DWORD src1_sel:WORD_0
	v_lshlrev_b32_sdwa v5, v5, v4 dst_sel:DWORD dst_unused:UNUSED_PAD src0_sel:DWORD src1_sel:WORD_1
	v_or_b32_e32 v7, 7, v26
	ds_write_b32 v5, v7 offset:24
	ds_write_b32 v6, v7 offset:96
	s_or_b64 exec, exec, s[8:9]
	v_cmp_ne_u16_sdwa s[10:11], v3, v4 src0_sel:WORD_1 src1_sel:WORD_0
	s_and_saveexec_b64 s[8:9], s[10:11]
	s_cbranch_execz .LBB4_49
.LBB4_95:
	v_mov_b32_e32 v5, 2
	v_lshlrev_b32_sdwa v6, v5, v3 dst_sel:DWORD dst_unused:UNUSED_PAD src0_sel:DWORD src1_sel:WORD_1
	v_lshlrev_b32_sdwa v4, v5, v4 dst_sel:DWORD dst_unused:UNUSED_PAD src0_sel:DWORD src1_sel:WORD_0
	v_or_b32_e32 v5, 6, v26
	ds_write_b32 v4, v5 offset:24
	ds_write_b32 v6, v5 offset:96
	s_or_b64 exec, exec, s[8:9]
	v_cmp_ne_u16_sdwa s[10:11], v3, v3 src0_sel:DWORD src1_sel:WORD_1
	s_and_saveexec_b64 s[8:9], s[10:11]
	s_cbranch_execz .LBB4_50
.LBB4_96:
	v_mov_b32_e32 v4, 2
	v_lshlrev_b32_sdwa v5, v4, v3 dst_sel:DWORD dst_unused:UNUSED_PAD src0_sel:DWORD src1_sel:WORD_0
	v_lshlrev_b32_sdwa v4, v4, v3 dst_sel:DWORD dst_unused:UNUSED_PAD src0_sel:DWORD src1_sel:WORD_1
	v_or_b32_e32 v6, 5, v26
	ds_write_b32 v4, v6 offset:24
	ds_write_b32 v5, v6 offset:96
	s_or_b64 exec, exec, s[8:9]
	v_cmp_ne_u16_sdwa s[10:11], v2, v3 src0_sel:WORD_1 src1_sel:WORD_0
	s_and_saveexec_b64 s[8:9], s[10:11]
	s_cbranch_execz .LBB4_51
.LBB4_97:
	v_mov_b32_e32 v4, 2
	v_lshlrev_b32_sdwa v5, v4, v2 dst_sel:DWORD dst_unused:UNUSED_PAD src0_sel:DWORD src1_sel:WORD_1
	v_lshlrev_b32_sdwa v3, v4, v3 dst_sel:DWORD dst_unused:UNUSED_PAD src0_sel:DWORD src1_sel:WORD_0
	v_or_b32_e32 v4, 4, v26
	ds_write_b32 v3, v4 offset:24
	ds_write_b32 v5, v4 offset:96
	s_or_b64 exec, exec, s[8:9]
	v_cmp_ne_u16_sdwa s[10:11], v2, v2 src0_sel:DWORD src1_sel:WORD_1
	s_and_saveexec_b64 s[8:9], s[10:11]
	s_cbranch_execz .LBB4_52
.LBB4_98:
	v_mov_b32_e32 v3, 2
	v_lshlrev_b32_sdwa v4, v3, v2 dst_sel:DWORD dst_unused:UNUSED_PAD src0_sel:DWORD src1_sel:WORD_0
	v_lshlrev_b32_sdwa v3, v3, v2 dst_sel:DWORD dst_unused:UNUSED_PAD src0_sel:DWORD src1_sel:WORD_1
	v_or_b32_e32 v5, 3, v26
	ds_write_b32 v3, v5 offset:24
	ds_write_b32 v4, v5 offset:96
	s_or_b64 exec, exec, s[8:9]
	v_cmp_ne_u16_sdwa s[10:11], v1, v2 src0_sel:WORD_1 src1_sel:WORD_0
	s_and_saveexec_b64 s[8:9], s[10:11]
	s_cbranch_execz .LBB4_53
.LBB4_99:
	v_mov_b32_e32 v3, 2
	v_lshlrev_b32_sdwa v4, v3, v1 dst_sel:DWORD dst_unused:UNUSED_PAD src0_sel:DWORD src1_sel:WORD_1
	v_lshlrev_b32_sdwa v2, v3, v2 dst_sel:DWORD dst_unused:UNUSED_PAD src0_sel:DWORD src1_sel:WORD_0
	v_or_b32_e32 v3, 2, v26
	ds_write_b32 v2, v3 offset:24
	ds_write_b32 v4, v3 offset:96
	s_or_b64 exec, exec, s[8:9]
	v_cmp_ne_u16_sdwa s[10:11], v1, v1 src0_sel:DWORD src1_sel:WORD_1
	s_and_saveexec_b64 s[8:9], s[10:11]
	s_cbranch_execnz .LBB4_54
	s_branch .LBB4_55
.LBB4_100:
	v_add_u32_e32 v1, v25, v25
	ds_read2_b32 v[1:2], v1 offset0:6 offset1:24
	ds_read_u16 v3, v25 offset:384
	s_waitcnt lgkmcnt(1)
	v_sub_u32_e32 v1, v2, v1
	s_waitcnt lgkmcnt(0)
	v_add_u16_e32 v1, v3, v1
	ds_write_b16 v25, v1 offset:384
	s_or_b64 exec, exec, s[8:9]
	s_and_saveexec_b64 s[8:9], s[2:3]
	s_cbranch_execz .LBB4_62
.LBB4_101:
	v_add_u32_e32 v1, v25, v25
	ds_read2_b32 v[1:2], v1 offset0:12 offset1:30
	ds_read_u16 v3, v25 offset:396
	s_waitcnt lgkmcnt(1)
	v_sub_u32_e32 v1, v2, v1
	s_waitcnt lgkmcnt(0)
	v_add_u16_e32 v1, v3, v1
	ds_write_b16 v25, v1 offset:396
	s_or_b64 exec, exec, s[8:9]
	s_and_saveexec_b64 s[8:9], s[0:1]
	s_cbranch_execnz .LBB4_63
	s_branch .LBB4_64
.LBB4_102:
	v_add_u32_e32 v1, s8, v0
	v_mov_b32_e32 v2, 0
	ds_read_u16 v4, v25 offset:384
	v_lshlrev_b64 v[1:2], 1, v[1:2]
	v_mov_b32_e32 v3, s31
	v_add_co_u32_e32 v1, vcc, s30, v1
	s_add_i32 s4, s8, 6
	v_addc_co_u32_e32 v2, vcc, v3, v2, vcc
	s_waitcnt lgkmcnt(0)
	global_store_short v[1:2], v4, off
	v_mov_b32_e32 v1, s4
	s_or_b64 exec, exec, s[6:7]
	s_and_saveexec_b64 s[4:5], s[2:3]
	s_cbranch_execz .LBB4_66
.LBB4_103:
	v_add_u32_e32 v3, 6, v1
	v_add_u32_e32 v1, v1, v0
	v_mov_b32_e32 v2, 0
	ds_read_u16 v5, v25 offset:396
	v_lshlrev_b64 v[1:2], 1, v[1:2]
	v_mov_b32_e32 v4, s31
	v_add_co_u32_e32 v1, vcc, s30, v1
	v_addc_co_u32_e32 v2, vcc, v4, v2, vcc
	s_waitcnt lgkmcnt(0)
	global_store_short v[1:2], v5, off
	v_mov_b32_e32 v1, v3
	s_or_b64 exec, exec, s[4:5]
	s_and_saveexec_b64 s[2:3], s[0:1]
	s_cbranch_execz .LBB4_67
.LBB4_104:
	v_add_u32_e32 v0, v1, v0
	v_mov_b32_e32 v1, 0
	ds_read_u16 v3, v25 offset:408
	v_lshlrev_b64 v[0:1], 1, v[0:1]
	v_mov_b32_e32 v2, s31
	v_add_co_u32_e32 v0, vcc, s30, v0
	v_addc_co_u32_e32 v1, vcc, v2, v1, vcc
	s_waitcnt lgkmcnt(0)
	global_store_short v[0:1], v3, off
	s_endpgm
	.section	.rodata,"a",@progbits
	.p2align	6, 0x0
	.amdhsa_kernel _Z16histogram_kernelILj6ELj32ELj18ELN6hipcub23BlockHistogramAlgorithmE1EtEvPT3_S3_
		.amdhsa_group_segment_fixed_size 420
		.amdhsa_private_segment_fixed_size 0
		.amdhsa_kernarg_size 16
		.amdhsa_user_sgpr_count 6
		.amdhsa_user_sgpr_private_segment_buffer 1
		.amdhsa_user_sgpr_dispatch_ptr 0
		.amdhsa_user_sgpr_queue_ptr 0
		.amdhsa_user_sgpr_kernarg_segment_ptr 1
		.amdhsa_user_sgpr_dispatch_id 0
		.amdhsa_user_sgpr_flat_scratch_init 0
		.amdhsa_user_sgpr_private_segment_size 0
		.amdhsa_uses_dynamic_stack 0
		.amdhsa_system_sgpr_private_segment_wavefront_offset 0
		.amdhsa_system_sgpr_workgroup_id_x 1
		.amdhsa_system_sgpr_workgroup_id_y 0
		.amdhsa_system_sgpr_workgroup_id_z 0
		.amdhsa_system_sgpr_workgroup_info 0
		.amdhsa_system_vgpr_workitem_id 0
		.amdhsa_next_free_vgpr 128
		.amdhsa_next_free_sgpr 32
		.amdhsa_reserve_vcc 1
		.amdhsa_reserve_flat_scratch 0
		.amdhsa_float_round_mode_32 0
		.amdhsa_float_round_mode_16_64 0
		.amdhsa_float_denorm_mode_32 3
		.amdhsa_float_denorm_mode_16_64 3
		.amdhsa_dx10_clamp 1
		.amdhsa_ieee_mode 1
		.amdhsa_fp16_overflow 0
		.amdhsa_exception_fp_ieee_invalid_op 0
		.amdhsa_exception_fp_denorm_src 0
		.amdhsa_exception_fp_ieee_div_zero 0
		.amdhsa_exception_fp_ieee_overflow 0
		.amdhsa_exception_fp_ieee_underflow 0
		.amdhsa_exception_fp_ieee_inexact 0
		.amdhsa_exception_int_div_zero 0
	.end_amdhsa_kernel
	.section	.text._Z16histogram_kernelILj6ELj32ELj18ELN6hipcub23BlockHistogramAlgorithmE1EtEvPT3_S3_,"axG",@progbits,_Z16histogram_kernelILj6ELj32ELj18ELN6hipcub23BlockHistogramAlgorithmE1EtEvPT3_S3_,comdat
.Lfunc_end4:
	.size	_Z16histogram_kernelILj6ELj32ELj18ELN6hipcub23BlockHistogramAlgorithmE1EtEvPT3_S3_, .Lfunc_end4-_Z16histogram_kernelILj6ELj32ELj18ELN6hipcub23BlockHistogramAlgorithmE1EtEvPT3_S3_
                                        ; -- End function
	.set _Z16histogram_kernelILj6ELj32ELj18ELN6hipcub23BlockHistogramAlgorithmE1EtEvPT3_S3_.num_vgpr, 128
	.set _Z16histogram_kernelILj6ELj32ELj18ELN6hipcub23BlockHistogramAlgorithmE1EtEvPT3_S3_.num_agpr, 0
	.set _Z16histogram_kernelILj6ELj32ELj18ELN6hipcub23BlockHistogramAlgorithmE1EtEvPT3_S3_.numbered_sgpr, 32
	.set _Z16histogram_kernelILj6ELj32ELj18ELN6hipcub23BlockHistogramAlgorithmE1EtEvPT3_S3_.num_named_barrier, 0
	.set _Z16histogram_kernelILj6ELj32ELj18ELN6hipcub23BlockHistogramAlgorithmE1EtEvPT3_S3_.private_seg_size, 0
	.set _Z16histogram_kernelILj6ELj32ELj18ELN6hipcub23BlockHistogramAlgorithmE1EtEvPT3_S3_.uses_vcc, 1
	.set _Z16histogram_kernelILj6ELj32ELj18ELN6hipcub23BlockHistogramAlgorithmE1EtEvPT3_S3_.uses_flat_scratch, 0
	.set _Z16histogram_kernelILj6ELj32ELj18ELN6hipcub23BlockHistogramAlgorithmE1EtEvPT3_S3_.has_dyn_sized_stack, 0
	.set _Z16histogram_kernelILj6ELj32ELj18ELN6hipcub23BlockHistogramAlgorithmE1EtEvPT3_S3_.has_recursion, 0
	.set _Z16histogram_kernelILj6ELj32ELj18ELN6hipcub23BlockHistogramAlgorithmE1EtEvPT3_S3_.has_indirect_call, 0
	.section	.AMDGPU.csdata,"",@progbits
; Kernel info:
; codeLenInByte = 7564
; TotalNumSgprs: 36
; NumVgprs: 128
; ScratchSize: 0
; MemoryBound: 0
; FloatMode: 240
; IeeeMode: 1
; LDSByteSize: 420 bytes/workgroup (compile time only)
; SGPRBlocks: 4
; VGPRBlocks: 31
; NumSGPRsForWavesPerEU: 36
; NumVGPRsForWavesPerEU: 128
; Occupancy: 2
; WaveLimiterHint : 0
; COMPUTE_PGM_RSRC2:SCRATCH_EN: 0
; COMPUTE_PGM_RSRC2:USER_SGPR: 6
; COMPUTE_PGM_RSRC2:TRAP_HANDLER: 0
; COMPUTE_PGM_RSRC2:TGID_X_EN: 1
; COMPUTE_PGM_RSRC2:TGID_Y_EN: 0
; COMPUTE_PGM_RSRC2:TGID_Z_EN: 0
; COMPUTE_PGM_RSRC2:TIDIG_COMP_CNT: 0
	.section	.text._Z16histogram_kernelILj1024ELj1ELj1024ELN6hipcub23BlockHistogramAlgorithmE1EhEvPT3_S3_,"axG",@progbits,_Z16histogram_kernelILj1024ELj1ELj1024ELN6hipcub23BlockHistogramAlgorithmE1EhEvPT3_S3_,comdat
	.protected	_Z16histogram_kernelILj1024ELj1ELj1024ELN6hipcub23BlockHistogramAlgorithmE1EhEvPT3_S3_ ; -- Begin function _Z16histogram_kernelILj1024ELj1ELj1024ELN6hipcub23BlockHistogramAlgorithmE1EhEvPT3_S3_
	.globl	_Z16histogram_kernelILj1024ELj1ELj1024ELN6hipcub23BlockHistogramAlgorithmE1EhEvPT3_S3_
	.p2align	8
	.type	_Z16histogram_kernelILj1024ELj1ELj1024ELN6hipcub23BlockHistogramAlgorithmE1EhEvPT3_S3_,@function
_Z16histogram_kernelILj1024ELj1ELj1024ELN6hipcub23BlockHistogramAlgorithmE1EhEvPT3_S3_: ; @_Z16histogram_kernelILj1024ELj1ELj1024ELN6hipcub23BlockHistogramAlgorithmE1EhEvPT3_S3_
; %bb.0:
	s_load_dwordx4 s[8:11], s[4:5], 0x0
	s_load_dword s7, s[4:5], 0x1c
	v_lshl_or_b32 v5, s6, 10, v0
	s_mov_b32 s0, 0
	s_mov_b32 s1, s0
	s_waitcnt lgkmcnt(0)
	global_load_ubyte v6, v5, s[8:9]
	v_mov_b32_e32 v9, s1
	s_mov_b32 s2, s0
	s_mov_b32 s3, s0
	v_mov_b32_e32 v8, s0
	s_lshr_b32 s0, s7, 16
	s_and_b32 s1, s7, 0xffff
	v_mad_u32_u24 v1, v2, s0, v1
	v_mad_u64_u32 v[1:2], s[0:1], v1, s1, v[0:1]
	v_mov_b32_e32 v11, s3
	v_mov_b32_e32 v3, 0
	v_lshlrev_b32_e32 v7, 4, v0
	v_mov_b32_e32 v10, s2
	v_lshrrev_b32_e32 v1, 4, v1
	ds_write_b8 v0, v3 offset:16448
	s_waitcnt vmcnt(0) lgkmcnt(0)
	s_barrier
	ds_write2_b64 v7, v[8:9], v[10:11] offset0:8 offset1:9
	v_and_b32_e32 v9, 0xffffffc, v1
	v_mov_b32_e32 v4, 6
	s_waitcnt lgkmcnt(0)
	s_barrier
	; wave barrier
	v_and_b32_e32 v1, 1, v6
	v_add_co_u32_e32 v2, vcc, -1, v1
	v_lshlrev_b32_sdwa v10, v4, v6 dst_sel:DWORD dst_unused:UNUSED_PAD src0_sel:DWORD src1_sel:BYTE_0
	v_lshlrev_b32_e32 v4, 30, v6
	v_addc_co_u32_e64 v8, s[0:1], 0, -1, vcc
	v_cmp_ne_u32_e32 vcc, 0, v1
	v_cmp_gt_i64_e64 s[0:1], 0, v[3:4]
	v_not_b32_e32 v1, v4
	v_lshlrev_b32_e32 v4, 29, v6
	v_xor_b32_e32 v8, vcc_hi, v8
	v_xor_b32_e32 v2, vcc_lo, v2
	v_ashrrev_i32_e32 v1, 31, v1
	v_cmp_gt_i64_e32 vcc, 0, v[3:4]
	v_not_b32_e32 v11, v4
	v_lshlrev_b32_e32 v4, 28, v6
	v_and_b32_e32 v8, exec_hi, v8
	v_and_b32_e32 v2, exec_lo, v2
	v_xor_b32_e32 v12, s1, v1
	v_xor_b32_e32 v1, s0, v1
	v_ashrrev_i32_e32 v11, 31, v11
	v_cmp_gt_i64_e64 s[0:1], 0, v[3:4]
	v_not_b32_e32 v13, v4
	v_lshlrev_b32_e32 v4, 27, v6
	v_and_b32_e32 v8, v8, v12
	v_and_b32_e32 v1, v2, v1
	v_xor_b32_e32 v2, vcc_hi, v11
	v_xor_b32_e32 v11, vcc_lo, v11
	v_ashrrev_i32_e32 v12, 31, v13
	v_cmp_gt_i64_e32 vcc, 0, v[3:4]
	v_not_b32_e32 v13, v4
	v_lshlrev_b32_e32 v4, 26, v6
	v_and_b32_e32 v2, v8, v2
	v_and_b32_e32 v1, v1, v11
	v_xor_b32_e32 v8, s1, v12
	v_xor_b32_e32 v11, s0, v12
	v_ashrrev_i32_e32 v12, 31, v13
	v_cmp_gt_i64_e64 s[0:1], 0, v[3:4]
	v_not_b32_e32 v13, v4
	v_lshlrev_b32_e32 v4, 25, v6
	v_and_b32_e32 v2, v2, v8
	v_and_b32_e32 v1, v1, v11
	v_xor_b32_e32 v8, vcc_hi, v12
	v_xor_b32_e32 v11, vcc_lo, v12
	v_ashrrev_i32_e32 v12, 31, v13
	v_cmp_gt_i64_e32 vcc, 0, v[3:4]
	v_not_b32_e32 v13, v4
	v_lshlrev_b32_e32 v4, 24, v6
	v_and_b32_e32 v2, v2, v8
	v_and_b32_e32 v1, v1, v11
	v_xor_b32_e32 v8, s1, v12
	v_xor_b32_e32 v11, s0, v12
	v_ashrrev_i32_e32 v12, 31, v13
	v_cmp_gt_i64_e64 s[0:1], 0, v[3:4]
	v_not_b32_e32 v3, v4
	v_and_b32_e32 v2, v2, v8
	v_and_b32_e32 v1, v1, v11
	v_xor_b32_e32 v4, vcc_hi, v12
	v_xor_b32_e32 v8, vcc_lo, v12
	v_ashrrev_i32_e32 v3, 31, v3
	v_and_b32_e32 v2, v2, v4
	v_and_b32_e32 v1, v1, v8
	v_xor_b32_e32 v4, s1, v3
	v_xor_b32_e32 v3, s0, v3
	v_and_b32_e32 v1, v1, v3
	v_and_b32_e32 v2, v2, v4
	v_mbcnt_lo_u32_b32 v3, v1, 0
	v_mbcnt_hi_u32_b32 v8, v2, v3
	v_cmp_ne_u64_e32 vcc, 0, v[1:2]
	v_cmp_eq_u32_e64 s[0:1], 0, v8
	s_and_b64 s[2:3], vcc, s[0:1]
	v_add_u32_e32 v9, v9, v10
	s_and_saveexec_b64 s[0:1], s[2:3]
; %bb.1:
	v_bcnt_u32_b32 v1, v1, 0
	v_bcnt_u32_b32 v1, v2, v1
	ds_write_b32 v9, v1 offset:64
; %bb.2:
	s_or_b64 exec, exec, s[0:1]
	; wave barrier
	s_waitcnt lgkmcnt(0)
	s_barrier
	ds_read2_b64 v[1:4], v7 offset0:8 offset1:9
	s_waitcnt lgkmcnt(0)
	v_add_u32_e32 v10, v2, v1
	v_add3_u32 v10, v10, v3, v4
	v_mbcnt_lo_u32_b32 v4, -1, 0
	v_mbcnt_hi_u32_b32 v4, -1, v4
	v_and_b32_e32 v11, 15, v4
	v_mov_b32_dpp v12, v10 row_shr:1 row_mask:0xf bank_mask:0xf
	v_cmp_eq_u32_e32 vcc, 0, v11
	v_cndmask_b32_e64 v12, v12, 0, vcc
	v_add_u32_e32 v10, v12, v10
	v_cmp_lt_u32_e64 s[0:1], 1, v11
	v_cmp_lt_u32_e64 s[2:3], 3, v11
	v_mov_b32_dpp v12, v10 row_shr:2 row_mask:0xf bank_mask:0xf
	v_cndmask_b32_e64 v12, 0, v12, s[0:1]
	v_add_u32_e32 v10, v10, v12
	v_cmp_lt_u32_e64 s[4:5], 7, v11
	v_cmp_lt_u32_e64 s[6:7], 31, v4
	v_mov_b32_dpp v12, v10 row_shr:4 row_mask:0xf bank_mask:0xf
	v_cndmask_b32_e64 v12, 0, v12, s[2:3]
	v_add_u32_e32 v10, v10, v12
	s_nop 1
	v_mov_b32_dpp v12, v10 row_shr:8 row_mask:0xf bank_mask:0xf
	v_cndmask_b32_e64 v11, 0, v12, s[4:5]
	v_add_u32_e32 v10, v10, v11
	v_bfe_i32 v12, v4, 4, 1
	s_nop 0
	v_mov_b32_dpp v11, v10 row_bcast:15 row_mask:0xf bank_mask:0xf
	v_and_b32_e32 v11, v12, v11
	v_add_u32_e32 v10, v10, v11
	v_and_b32_e32 v12, 63, v0
	s_nop 0
	v_mov_b32_dpp v11, v10 row_bcast:31 row_mask:0xf bank_mask:0xf
	v_cndmask_b32_e64 v11, 0, v11, s[6:7]
	v_add_u32_e32 v10, v10, v11
	v_lshrrev_b32_e32 v11, 6, v0
	v_cmp_eq_u32_e64 s[6:7], 63, v12
	s_and_saveexec_b64 s[8:9], s[6:7]
; %bb.3:
	v_lshlrev_b32_e32 v12, 2, v11
	ds_write_b32 v12, v10
; %bb.4:
	s_or_b64 exec, exec, s[8:9]
	v_cmp_gt_u32_e64 s[6:7], 16, v0
	s_waitcnt lgkmcnt(0)
	s_barrier
	s_and_saveexec_b64 s[8:9], s[6:7]
	s_cbranch_execz .LBB5_6
; %bb.5:
	v_mad_i32_i24 v12, v0, -12, v7
	ds_read_b32 v13, v12
	s_waitcnt lgkmcnt(0)
	s_nop 0
	v_mov_b32_dpp v14, v13 row_shr:1 row_mask:0xf bank_mask:0xf
	v_cndmask_b32_e64 v14, v14, 0, vcc
	v_add_u32_e32 v13, v14, v13
	s_nop 1
	v_mov_b32_dpp v14, v13 row_shr:2 row_mask:0xf bank_mask:0xf
	v_cndmask_b32_e64 v14, 0, v14, s[0:1]
	v_add_u32_e32 v13, v13, v14
	s_nop 1
	v_mov_b32_dpp v14, v13 row_shr:4 row_mask:0xf bank_mask:0xf
	v_cndmask_b32_e64 v14, 0, v14, s[2:3]
	;; [unrolled: 4-line block ×3, first 2 shown]
	v_add_u32_e32 v13, v13, v14
	ds_write_b32 v12, v13
.LBB5_6:
	s_or_b64 exec, exec, s[8:9]
	v_cmp_lt_u32_e32 vcc, 63, v0
	v_mov_b32_e32 v12, 0
	s_waitcnt lgkmcnt(0)
	s_barrier
	s_and_saveexec_b64 s[0:1], vcc
; %bb.7:
	v_lshl_add_u32 v11, v11, 2, -4
	ds_read_b32 v12, v11
; %bb.8:
	s_or_b64 exec, exec, s[0:1]
	v_subrev_co_u32_e32 v11, vcc, 1, v4
	v_and_b32_e32 v13, 64, v4
	v_cmp_lt_i32_e64 s[0:1], v11, v13
	v_cndmask_b32_e64 v4, v11, v4, s[0:1]
	s_waitcnt lgkmcnt(0)
	v_add_u32_e32 v10, v12, v10
	v_lshlrev_b32_e32 v4, 2, v4
	ds_bpermute_b32 v4, v4, v10
	v_cmp_ne_u32_e64 s[0:1], 0, v0
	s_waitcnt lgkmcnt(0)
	v_cndmask_b32_e32 v4, v4, v12, vcc
	v_cmp_eq_u32_e32 vcc, 0, v0
	v_cndmask_b32_e64 v10, v4, 0, vcc
	v_add_u32_e32 v11, v10, v1
	v_add_u32_e32 v1, v11, v2
	;; [unrolled: 1-line block ×3, first 2 shown]
	ds_write2_b64 v7, v[10:11], v[1:2] offset0:8 offset1:9
	s_waitcnt lgkmcnt(0)
	s_barrier
	ds_read_b32 v1, v9 offset:64
	s_waitcnt lgkmcnt(0)
	s_barrier
	v_mad_u32_u24 v2, v0, 3, v0
	v_add_u32_e32 v1, v1, v8
	ds_write_b8 v1, v6
	s_waitcnt lgkmcnt(0)
	s_barrier
	ds_read_u8 v1, v0
	v_mov_b32_e32 v3, 0x400
	s_waitcnt lgkmcnt(0)
	s_barrier
	ds_write2st64_b32 v2, v3, v3 offset0:8 offset1:24
	s_waitcnt lgkmcnt(0)
	s_barrier
	ds_write_b8 v0, v1
	s_waitcnt lgkmcnt(0)
	s_barrier
	s_and_saveexec_b64 s[2:3], s[0:1]
	s_cbranch_execz .LBB5_11
; %bb.9:
	v_add_u32_e32 v2, -1, v0
	ds_read_u8 v2, v2
	s_waitcnt lgkmcnt(0)
	v_cmp_ne_u16_sdwa s[0:1], v2, v1 src0_sel:DWORD src1_sel:BYTE_0
	s_and_b64 exec, exec, s[0:1]
	s_cbranch_execz .LBB5_11
; %bb.10:
	v_mov_b32_e32 v3, 2
	v_lshlrev_b32_sdwa v4, v3, v1 dst_sel:DWORD dst_unused:UNUSED_PAD src0_sel:DWORD src1_sel:BYTE_0
	v_lshlrev_b32_sdwa v2, v3, v2 dst_sel:DWORD dst_unused:UNUSED_PAD src0_sel:DWORD src1_sel:WORD_0
	ds_write_b32 v4, v0 offset:2048
	ds_write_b32 v2, v0 offset:6144
.LBB5_11:
	s_or_b64 exec, exec, s[2:3]
	v_mul_u32_u24_e32 v2, 3, v0
	s_waitcnt lgkmcnt(0)
	s_barrier
	s_and_saveexec_b64 s[0:1], vcc
; %bb.12:
	v_mov_b32_e32 v3, 2
	v_lshlrev_b32_sdwa v1, v3, v1 dst_sel:DWORD dst_unused:UNUSED_PAD src0_sel:DWORD src1_sel:BYTE_0
	v_mov_b32_e32 v3, 0
	ds_write_b32 v1, v3 offset:2048
; %bb.13:
	s_or_b64 exec, exec, s[0:1]
	v_add_u32_e32 v1, v0, v2
	s_waitcnt lgkmcnt(0)
	s_barrier
	ds_read2st64_b32 v[1:2], v1 offset0:8 offset1:24
	ds_read_u8 v3, v0 offset:16448
	s_waitcnt lgkmcnt(1)
	v_sub_u32_e32 v1, v2, v1
	s_waitcnt lgkmcnt(0)
	v_add_u16_e32 v1, v3, v1
	ds_write_b8 v0, v1 offset:16448
	s_waitcnt lgkmcnt(0)
	s_barrier
	ds_read_u8 v2, v0 offset:16448
	v_mov_b32_e32 v1, s11
	v_add_co_u32_e32 v0, vcc, s10, v5
	v_addc_co_u32_e32 v1, vcc, 0, v1, vcc
	s_waitcnt lgkmcnt(0)
	global_store_byte v[0:1], v2, off
	s_endpgm
	.section	.rodata,"a",@progbits
	.p2align	6, 0x0
	.amdhsa_kernel _Z16histogram_kernelILj1024ELj1ELj1024ELN6hipcub23BlockHistogramAlgorithmE1EhEvPT3_S3_
		.amdhsa_group_segment_fixed_size 17472
		.amdhsa_private_segment_fixed_size 0
		.amdhsa_kernarg_size 272
		.amdhsa_user_sgpr_count 6
		.amdhsa_user_sgpr_private_segment_buffer 1
		.amdhsa_user_sgpr_dispatch_ptr 0
		.amdhsa_user_sgpr_queue_ptr 0
		.amdhsa_user_sgpr_kernarg_segment_ptr 1
		.amdhsa_user_sgpr_dispatch_id 0
		.amdhsa_user_sgpr_flat_scratch_init 0
		.amdhsa_user_sgpr_private_segment_size 0
		.amdhsa_uses_dynamic_stack 0
		.amdhsa_system_sgpr_private_segment_wavefront_offset 0
		.amdhsa_system_sgpr_workgroup_id_x 1
		.amdhsa_system_sgpr_workgroup_id_y 0
		.amdhsa_system_sgpr_workgroup_id_z 0
		.amdhsa_system_sgpr_workgroup_info 0
		.amdhsa_system_vgpr_workitem_id 2
		.amdhsa_next_free_vgpr 29
		.amdhsa_next_free_sgpr 61
		.amdhsa_reserve_vcc 1
		.amdhsa_reserve_flat_scratch 0
		.amdhsa_float_round_mode_32 0
		.amdhsa_float_round_mode_16_64 0
		.amdhsa_float_denorm_mode_32 3
		.amdhsa_float_denorm_mode_16_64 3
		.amdhsa_dx10_clamp 1
		.amdhsa_ieee_mode 1
		.amdhsa_fp16_overflow 0
		.amdhsa_exception_fp_ieee_invalid_op 0
		.amdhsa_exception_fp_denorm_src 0
		.amdhsa_exception_fp_ieee_div_zero 0
		.amdhsa_exception_fp_ieee_overflow 0
		.amdhsa_exception_fp_ieee_underflow 0
		.amdhsa_exception_fp_ieee_inexact 0
		.amdhsa_exception_int_div_zero 0
	.end_amdhsa_kernel
	.section	.text._Z16histogram_kernelILj1024ELj1ELj1024ELN6hipcub23BlockHistogramAlgorithmE1EhEvPT3_S3_,"axG",@progbits,_Z16histogram_kernelILj1024ELj1ELj1024ELN6hipcub23BlockHistogramAlgorithmE1EhEvPT3_S3_,comdat
.Lfunc_end5:
	.size	_Z16histogram_kernelILj1024ELj1ELj1024ELN6hipcub23BlockHistogramAlgorithmE1EhEvPT3_S3_, .Lfunc_end5-_Z16histogram_kernelILj1024ELj1ELj1024ELN6hipcub23BlockHistogramAlgorithmE1EhEvPT3_S3_
                                        ; -- End function
	.set _Z16histogram_kernelILj1024ELj1ELj1024ELN6hipcub23BlockHistogramAlgorithmE1EhEvPT3_S3_.num_vgpr, 15
	.set _Z16histogram_kernelILj1024ELj1ELj1024ELN6hipcub23BlockHistogramAlgorithmE1EhEvPT3_S3_.num_agpr, 0
	.set _Z16histogram_kernelILj1024ELj1ELj1024ELN6hipcub23BlockHistogramAlgorithmE1EhEvPT3_S3_.numbered_sgpr, 12
	.set _Z16histogram_kernelILj1024ELj1ELj1024ELN6hipcub23BlockHistogramAlgorithmE1EhEvPT3_S3_.num_named_barrier, 0
	.set _Z16histogram_kernelILj1024ELj1ELj1024ELN6hipcub23BlockHistogramAlgorithmE1EhEvPT3_S3_.private_seg_size, 0
	.set _Z16histogram_kernelILj1024ELj1ELj1024ELN6hipcub23BlockHistogramAlgorithmE1EhEvPT3_S3_.uses_vcc, 1
	.set _Z16histogram_kernelILj1024ELj1ELj1024ELN6hipcub23BlockHistogramAlgorithmE1EhEvPT3_S3_.uses_flat_scratch, 0
	.set _Z16histogram_kernelILj1024ELj1ELj1024ELN6hipcub23BlockHistogramAlgorithmE1EhEvPT3_S3_.has_dyn_sized_stack, 0
	.set _Z16histogram_kernelILj1024ELj1ELj1024ELN6hipcub23BlockHistogramAlgorithmE1EhEvPT3_S3_.has_recursion, 0
	.set _Z16histogram_kernelILj1024ELj1ELj1024ELN6hipcub23BlockHistogramAlgorithmE1EhEvPT3_S3_.has_indirect_call, 0
	.section	.AMDGPU.csdata,"",@progbits
; Kernel info:
; codeLenInByte = 1376
; TotalNumSgprs: 16
; NumVgprs: 15
; ScratchSize: 0
; MemoryBound: 0
; FloatMode: 240
; IeeeMode: 1
; LDSByteSize: 17472 bytes/workgroup (compile time only)
; SGPRBlocks: 8
; VGPRBlocks: 7
; NumSGPRsForWavesPerEU: 65
; NumVGPRsForWavesPerEU: 29
; Occupancy: 8
; WaveLimiterHint : 0
; COMPUTE_PGM_RSRC2:SCRATCH_EN: 0
; COMPUTE_PGM_RSRC2:USER_SGPR: 6
; COMPUTE_PGM_RSRC2:TRAP_HANDLER: 0
; COMPUTE_PGM_RSRC2:TGID_X_EN: 1
; COMPUTE_PGM_RSRC2:TGID_Y_EN: 0
; COMPUTE_PGM_RSRC2:TGID_Z_EN: 0
; COMPUTE_PGM_RSRC2:TIDIG_COMP_CNT: 2
	.section	.text._Z16histogram_kernelILj512ELj4ELj512ELN6hipcub23BlockHistogramAlgorithmE1EhEvPT3_S3_,"axG",@progbits,_Z16histogram_kernelILj512ELj4ELj512ELN6hipcub23BlockHistogramAlgorithmE1EhEvPT3_S3_,comdat
	.protected	_Z16histogram_kernelILj512ELj4ELj512ELN6hipcub23BlockHistogramAlgorithmE1EhEvPT3_S3_ ; -- Begin function _Z16histogram_kernelILj512ELj4ELj512ELN6hipcub23BlockHistogramAlgorithmE1EhEvPT3_S3_
	.globl	_Z16histogram_kernelILj512ELj4ELj512ELN6hipcub23BlockHistogramAlgorithmE1EhEvPT3_S3_
	.p2align	8
	.type	_Z16histogram_kernelILj512ELj4ELj512ELN6hipcub23BlockHistogramAlgorithmE1EhEvPT3_S3_,@function
_Z16histogram_kernelILj512ELj4ELj512ELN6hipcub23BlockHistogramAlgorithmE1EhEvPT3_S3_: ; @_Z16histogram_kernelILj512ELj4ELj512ELN6hipcub23BlockHistogramAlgorithmE1EhEvPT3_S3_
; %bb.0:
	s_load_dwordx4 s[12:15], s[4:5], 0x0
	v_lshlrev_b32_e32 v5, 2, v0
	v_lshl_or_b32 v3, s6, 11, v5
	s_movk_i32 s0, 0x200
	v_cmp_gt_u32_e32 vcc, s0, v0
	s_waitcnt lgkmcnt(0)
	global_load_dword v3, v3, s[12:13]
	s_and_saveexec_b64 s[0:1], vcc
; %bb.1:
	v_mov_b32_e32 v4, 0
	ds_write_b8 v0, v4 offset:8224
; %bb.2:
	s_or_b64 exec, exec, s[0:1]
	v_mbcnt_lo_u32_b32 v6, -1, 0
	v_mbcnt_hi_u32_b32 v6, -1, v6
	v_lshrrev_b32_e32 v10, 2, v6
	v_and_b32_e32 v7, 64, v6
	v_or_b32_e32 v11, v10, v7
	s_waitcnt vmcnt(0)
	v_and_b32_e32 v8, 0xff, v3
	v_lshlrev_b32_e32 v11, 2, v11
	v_bfe_u32 v9, v3, 8, 8
	ds_bpermute_b32 v12, v11, v8
	v_lshrrev_b32_e32 v4, 24, v3
	v_bfe_u32 v3, v3, 16, 8
	ds_bpermute_b32 v14, v11, v9
	ds_bpermute_b32 v15, v11, v3
	v_and_b32_e32 v13, 3, v6
	s_waitcnt lgkmcnt(2)
	v_and_b32_e32 v12, 0xff, v12
	v_cmp_eq_u32_e64 s[8:9], 0, v13
	v_cndmask_b32_e64 v12, 0, v12, s[8:9]
	s_waitcnt lgkmcnt(1)
	v_and_b32_e32 v14, 0xff, v14
	v_cmp_eq_u32_e64 s[10:11], 1, v13
	v_cndmask_b32_e64 v12, v12, v14, s[10:11]
	s_waitcnt lgkmcnt(0)
	v_and_b32_e32 v14, 0xff, v15
	v_cmp_eq_u32_e64 s[2:3], 2, v13
	ds_bpermute_b32 v15, v11, v4
	v_cndmask_b32_e64 v12, v12, v14, s[2:3]
	ds_bpermute_b32 v14, v11, v8 offset:64
	s_mov_b32 s0, 0x3020104
	s_mov_b32 s16, 0xffff0000
	s_waitcnt lgkmcnt(1)
	v_perm_b32 v15, v15, v12, s0
	v_cmp_eq_u32_e64 s[0:1], 3, v13
	s_waitcnt lgkmcnt(0)
	v_lshlrev_b16_e32 v13, 8, v14
	ds_bpermute_b32 v14, v11, v9 offset:64
	v_cndmask_b32_e64 v12, v12, v15, s[0:1]
	v_or_b32_sdwa v13, v12, v13 dst_sel:DWORD dst_unused:UNUSED_PAD src0_sel:BYTE_0 src1_sel:DWORD
	v_and_b32_e32 v13, 0xffff, v13
	v_cndmask_b32_e64 v12, v12, v13, s[8:9]
	s_waitcnt lgkmcnt(0)
	v_lshlrev_b16_e32 v13, 8, v14
	ds_bpermute_b32 v14, v11, v3 offset:64
	v_or_b32_sdwa v13, v12, v13 dst_sel:DWORD dst_unused:UNUSED_PAD src0_sel:BYTE_0 src1_sel:DWORD
	v_and_b32_e32 v13, 0xffff, v13
	v_and_or_b32 v13, v12, s16, v13
	v_cndmask_b32_e64 v12, v12, v13, s[10:11]
	s_waitcnt lgkmcnt(0)
	v_lshlrev_b16_e32 v13, 8, v14
	ds_bpermute_b32 v14, v11, v4 offset:64
	v_or_b32_sdwa v13, v12, v13 dst_sel:DWORD dst_unused:UNUSED_PAD src0_sel:BYTE_0 src1_sel:DWORD
	v_and_b32_e32 v13, 0xffff, v13
	v_and_or_b32 v13, v12, s16, v13
	;; [unrolled: 7-line block ×3, first 2 shown]
	v_cndmask_b32_e64 v12, v12, v13, s[0:1]
	s_mov_b32 s16, 0xc0c0304
	ds_bpermute_b32 v13, v11, v9 offset:128
	s_waitcnt lgkmcnt(1)
	v_perm_b32 v14, v14, v12, s16
	s_mov_b32 s13, 0xffff
	v_lshlrev_b32_e32 v14, 16, v14
	v_and_or_b32 v14, v12, s13, v14
	v_cndmask_b32_e64 v12, v12, v14, s[8:9]
	ds_bpermute_b32 v14, v11, v3 offset:128
	s_waitcnt lgkmcnt(1)
	v_perm_b32 v13, v13, v12, s16
	v_lshlrev_b32_e32 v13, 16, v13
	v_and_or_b32 v13, v12, s13, v13
	v_cndmask_b32_e64 v12, v12, v13, s[10:11]
	ds_bpermute_b32 v11, v11, v4 offset:128
	s_waitcnt lgkmcnt(1)
	v_perm_b32 v13, v14, v12, s16
	v_add_u32_e32 v10, 48, v10
	v_lshlrev_b32_e32 v13, 16, v13
	v_and_or_b32 v10, v10, 63, v7
	v_and_or_b32 v13, v12, s13, v13
	v_lshlrev_b32_e32 v10, 2, v10
	v_cndmask_b32_e64 v12, v12, v13, s[2:3]
	ds_bpermute_b32 v8, v10, v8
	s_waitcnt lgkmcnt(1)
	v_perm_b32 v11, v11, v12, s16
	v_lshlrev_b32_e32 v11, 16, v11
	v_and_or_b32 v11, v12, s13, v11
	s_movk_i32 s7, 0xff
	v_cndmask_b32_e64 v11, v12, v11, s[0:1]
	ds_bpermute_b32 v9, v10, v9
	v_and_b32_sdwa v12, v11, s7 dst_sel:DWORD dst_unused:UNUSED_PAD src0_sel:WORD_1 src1_sel:DWORD
	s_waitcnt lgkmcnt(1)
	v_lshlrev_b16_e32 v8, 8, v8
	v_or_b32_sdwa v8, v12, v8 dst_sel:WORD_1 dst_unused:UNUSED_PAD src0_sel:DWORD src1_sel:DWORD
	v_and_or_b32 v8, v11, s13, v8
	v_cndmask_b32_e64 v8, v11, v8, s[8:9]
	ds_bpermute_b32 v3, v10, v3
	v_and_b32_sdwa v11, v8, s7 dst_sel:DWORD dst_unused:UNUSED_PAD src0_sel:WORD_1 src1_sel:DWORD
	s_waitcnt lgkmcnt(1)
	v_lshlrev_b16_e32 v9, 8, v9
	v_or_b32_sdwa v9, v11, v9 dst_sel:WORD_1 dst_unused:UNUSED_PAD src0_sel:DWORD src1_sel:DWORD
	v_and_or_b32 v9, v8, s13, v9
	v_cndmask_b32_e64 v8, v8, v9, s[10:11]
	v_and_b32_sdwa v9, v8, s7 dst_sel:DWORD dst_unused:UNUSED_PAD src0_sel:WORD_1 src1_sel:DWORD
	s_waitcnt lgkmcnt(0)
	v_lshlrev_b16_e32 v3, 8, v3
	ds_bpermute_b32 v4, v10, v4
	v_or_b32_sdwa v3, v9, v3 dst_sel:WORD_1 dst_unused:UNUSED_PAD src0_sel:DWORD src1_sel:DWORD
	v_and_or_b32 v3, v8, s13, v3
	s_waitcnt lgkmcnt(0)
	s_barrier
	v_cndmask_b32_e64 v3, v8, v3, s[2:3]
	s_barrier
	s_load_dword s2, s[4:5], 0x1c
	v_and_b32_sdwa v8, v3, s7 dst_sel:DWORD dst_unused:UNUSED_PAD src0_sel:WORD_1 src1_sel:DWORD
	v_lshlrev_b16_e32 v4, 8, v4
	v_or_b32_sdwa v4, v8, v4 dst_sel:WORD_1 dst_unused:UNUSED_PAD src0_sel:DWORD src1_sel:DWORD
	v_and_or_b32 v4, v3, s13, v4
	v_cndmask_b32_e64 v8, v3, v4, s[0:1]
	s_waitcnt lgkmcnt(0)
	s_lshr_b32 s0, s2, 16
	s_and_b32 s1, s2, 0xffff
	v_mad_u32_u24 v1, v2, s0, v1
	s_mov_b32 s12, 0
	v_mad_u64_u32 v[1:2], s[0:1], v1, s1, v[0:1]
	s_mov_b32 s1, s12
	s_mov_b32 s13, s12
	;; [unrolled: 1-line block ×3, first 2 shown]
	v_mov_b32_e32 v2, s12
	v_mov_b32_e32 v11, s1
	v_lshlrev_b32_e32 v9, 2, v5
	v_mov_b32_e32 v3, s13
	v_mov_b32_e32 v10, s0
	ds_write2_b64 v9, v[2:3], v[10:11] offset0:4 offset1:5
	v_and_b32_e32 v2, 1, v8
	v_add_co_u32_e64 v3, s[0:1], -1, v2
	v_addc_co_u32_e64 v11, s[0:1], 0, -1, s[0:1]
	v_lshrrev_b32_e32 v1, 6, v1
	v_cmp_ne_u32_e64 s[0:1], 0, v2
	v_lshlrev_b32_e32 v4, 2, v1
	v_and_b32_e32 v1, 0xff, v8
	v_xor_b32_e32 v2, s1, v11
	v_lshl_add_u32 v10, v1, 5, v4
	v_mov_b32_e32 v1, 0
	v_and_b32_e32 v11, exec_hi, v2
	v_lshlrev_b32_e32 v2, 30, v8
	v_xor_b32_e32 v3, s0, v3
	v_cmp_gt_i64_e64 s[0:1], 0, v[1:2]
	v_not_b32_e32 v2, v2
	v_ashrrev_i32_e32 v2, 31, v2
	v_and_b32_e32 v3, exec_lo, v3
	v_xor_b32_e32 v12, s1, v2
	v_xor_b32_e32 v2, s0, v2
	v_and_b32_e32 v3, v3, v2
	v_lshlrev_b32_e32 v2, 29, v8
	v_cmp_gt_i64_e64 s[0:1], 0, v[1:2]
	v_not_b32_e32 v2, v2
	v_ashrrev_i32_e32 v2, 31, v2
	v_and_b32_e32 v11, v11, v12
	v_xor_b32_e32 v12, s1, v2
	v_xor_b32_e32 v2, s0, v2
	v_and_b32_e32 v3, v3, v2
	v_lshlrev_b32_e32 v2, 28, v8
	v_cmp_gt_i64_e64 s[0:1], 0, v[1:2]
	v_not_b32_e32 v2, v2
	v_ashrrev_i32_e32 v2, 31, v2
	v_and_b32_e32 v11, v11, v12
	;; [unrolled: 8-line block ×5, first 2 shown]
	v_xor_b32_e32 v12, s1, v2
	v_xor_b32_e32 v2, s0, v2
	v_and_b32_e32 v11, v11, v12
	v_and_b32_e32 v12, v3, v2
	v_lshlrev_b32_e32 v2, 24, v8
	v_cmp_gt_i64_e64 s[0:1], 0, v[1:2]
	v_not_b32_e32 v2, v2
	v_ashrrev_i32_e32 v2, 31, v2
	v_xor_b32_e32 v3, s1, v2
	v_xor_b32_e32 v2, s0, v2
	v_and_b32_e32 v2, v12, v2
	v_and_b32_e32 v3, v11, v3
	v_mbcnt_lo_u32_b32 v11, v2, 0
	v_mbcnt_hi_u32_b32 v11, v3, v11
	v_cmp_ne_u64_e64 s[0:1], 0, v[2:3]
	v_cmp_eq_u32_e64 s[2:3], 0, v11
	s_and_b64 s[2:3], s[2:3], s[0:1]
	s_waitcnt lgkmcnt(0)
	s_barrier
	; wave barrier
	s_and_saveexec_b64 s[0:1], s[2:3]
; %bb.3:
	v_bcnt_u32_b32 v2, v2, 0
	v_bcnt_u32_b32 v2, v3, v2
	ds_write_b32 v10, v2 offset:32
; %bb.4:
	s_or_b64 exec, exec, s[0:1]
	v_bfe_u32 v2, v8, 8, 8
	v_lshl_add_u32 v14, v2, 5, v4
	v_bfe_u32 v2, v8, 8, 1
	v_add_co_u32_e64 v3, s[0:1], -1, v2
	v_addc_co_u32_e64 v15, s[0:1], 0, -1, s[0:1]
	v_cmp_ne_u32_e64 s[0:1], 0, v2
	v_lshrrev_b32_e32 v12, 8, v8
	v_xor_b32_e32 v2, s1, v15
	v_and_b32_e32 v15, exec_hi, v2
	v_lshlrev_b32_e32 v2, 30, v12
	v_xor_b32_e32 v3, s0, v3
	v_cmp_gt_i64_e64 s[0:1], 0, v[1:2]
	v_not_b32_e32 v2, v2
	v_ashrrev_i32_e32 v2, 31, v2
	v_and_b32_e32 v3, exec_lo, v3
	v_xor_b32_e32 v16, s1, v2
	v_xor_b32_e32 v2, s0, v2
	v_and_b32_e32 v3, v3, v2
	v_lshlrev_b32_e32 v2, 29, v12
	v_cmp_gt_i64_e64 s[0:1], 0, v[1:2]
	v_not_b32_e32 v2, v2
	v_ashrrev_i32_e32 v2, 31, v2
	v_and_b32_e32 v15, v15, v16
	v_xor_b32_e32 v16, s1, v2
	v_xor_b32_e32 v2, s0, v2
	v_and_b32_e32 v3, v3, v2
	v_lshlrev_b32_e32 v2, 28, v12
	v_cmp_gt_i64_e64 s[0:1], 0, v[1:2]
	v_not_b32_e32 v2, v2
	v_ashrrev_i32_e32 v2, 31, v2
	v_and_b32_e32 v15, v15, v16
	;; [unrolled: 8-line block ×5, first 2 shown]
	v_xor_b32_e32 v16, s1, v2
	v_xor_b32_e32 v2, s0, v2
	v_and_b32_e32 v3, v3, v2
	v_lshlrev_b32_e32 v2, 24, v12
	v_cmp_gt_i64_e64 s[0:1], 0, v[1:2]
	v_not_b32_e32 v1, v2
	v_ashrrev_i32_e32 v1, 31, v1
	v_xor_b32_e32 v2, s1, v1
	v_xor_b32_e32 v1, s0, v1
	; wave barrier
	ds_read_b32 v13, v14 offset:32
	v_and_b32_e32 v15, v15, v16
	v_and_b32_e32 v1, v3, v1
	;; [unrolled: 1-line block ×3, first 2 shown]
	v_mbcnt_lo_u32_b32 v3, v1, 0
	v_mbcnt_hi_u32_b32 v15, v2, v3
	v_cmp_ne_u64_e64 s[0:1], 0, v[1:2]
	v_cmp_eq_u32_e64 s[2:3], 0, v15
	s_and_b64 s[2:3], s[0:1], s[2:3]
	; wave barrier
	s_and_saveexec_b64 s[0:1], s[2:3]
	s_cbranch_execz .LBB6_6
; %bb.5:
	v_bcnt_u32_b32 v1, v1, 0
	v_bcnt_u32_b32 v1, v2, v1
	s_waitcnt lgkmcnt(0)
	v_add_u32_e32 v1, v13, v1
	ds_write_b32 v14, v1 offset:32
.LBB6_6:
	s_or_b64 exec, exec, s[0:1]
	v_bfe_u32 v2, v8, 16, 1
	v_add_co_u32_e64 v3, s[0:1], -1, v2
	v_addc_co_u32_e64 v19, s[0:1], 0, -1, s[0:1]
	v_cmp_ne_u32_e64 s[0:1], 0, v2
	v_lshrrev_b32_e32 v16, 16, v8
	v_bfe_u32 v1, v8, 16, 8
	v_xor_b32_e32 v2, s1, v19
	v_lshl_add_u32 v18, v1, 5, v4
	v_mov_b32_e32 v1, 0
	v_and_b32_e32 v19, exec_hi, v2
	v_lshlrev_b32_e32 v2, 30, v16
	v_xor_b32_e32 v3, s0, v3
	v_cmp_gt_i64_e64 s[0:1], 0, v[1:2]
	v_not_b32_e32 v2, v2
	v_ashrrev_i32_e32 v2, 31, v2
	v_and_b32_e32 v3, exec_lo, v3
	v_xor_b32_e32 v20, s1, v2
	v_xor_b32_e32 v2, s0, v2
	v_and_b32_e32 v3, v3, v2
	v_lshlrev_b32_e32 v2, 29, v16
	v_cmp_gt_i64_e64 s[0:1], 0, v[1:2]
	v_not_b32_e32 v2, v2
	v_ashrrev_i32_e32 v2, 31, v2
	v_and_b32_e32 v19, v19, v20
	v_xor_b32_e32 v20, s1, v2
	v_xor_b32_e32 v2, s0, v2
	v_and_b32_e32 v3, v3, v2
	v_lshlrev_b32_e32 v2, 28, v16
	v_cmp_gt_i64_e64 s[0:1], 0, v[1:2]
	v_not_b32_e32 v2, v2
	v_ashrrev_i32_e32 v2, 31, v2
	v_and_b32_e32 v19, v19, v20
	;; [unrolled: 8-line block ×5, first 2 shown]
	v_xor_b32_e32 v20, s1, v2
	v_xor_b32_e32 v2, s0, v2
	v_and_b32_e32 v19, v19, v20
	v_and_b32_e32 v20, v3, v2
	v_lshlrev_b32_e32 v2, 24, v16
	v_cmp_gt_i64_e64 s[0:1], 0, v[1:2]
	v_not_b32_e32 v2, v2
	v_ashrrev_i32_e32 v2, 31, v2
	v_xor_b32_e32 v3, s1, v2
	v_xor_b32_e32 v2, s0, v2
	; wave barrier
	ds_read_b32 v17, v18 offset:32
	v_and_b32_e32 v2, v20, v2
	v_and_b32_e32 v3, v19, v3
	v_mbcnt_lo_u32_b32 v19, v2, 0
	v_mbcnt_hi_u32_b32 v19, v3, v19
	v_cmp_ne_u64_e64 s[0:1], 0, v[2:3]
	v_cmp_eq_u32_e64 s[2:3], 0, v19
	s_and_b64 s[2:3], s[0:1], s[2:3]
	; wave barrier
	s_and_saveexec_b64 s[0:1], s[2:3]
	s_cbranch_execz .LBB6_8
; %bb.7:
	v_bcnt_u32_b32 v2, v2, 0
	v_bcnt_u32_b32 v2, v3, v2
	s_waitcnt lgkmcnt(0)
	v_add_u32_e32 v2, v17, v2
	ds_write_b32 v18, v2 offset:32
.LBB6_8:
	s_or_b64 exec, exec, s[0:1]
	v_bfe_u32 v2, v8, 24, 1
	v_lshrrev_b32_e32 v20, 24, v8
	v_add_co_u32_e64 v3, s[0:1], -1, v2
	v_lshl_add_u32 v22, v20, 5, v4
	v_addc_co_u32_e64 v4, s[0:1], 0, -1, s[0:1]
	v_cmp_ne_u32_e64 s[0:1], 0, v2
	v_xor_b32_e32 v2, s1, v4
	v_and_b32_e32 v4, exec_hi, v2
	v_lshlrev_b32_e32 v2, 30, v20
	v_xor_b32_e32 v3, s0, v3
	v_cmp_gt_i64_e64 s[0:1], 0, v[1:2]
	v_not_b32_e32 v2, v2
	v_ashrrev_i32_e32 v2, 31, v2
	v_and_b32_e32 v3, exec_lo, v3
	v_xor_b32_e32 v23, s1, v2
	v_xor_b32_e32 v2, s0, v2
	v_and_b32_e32 v3, v3, v2
	v_lshlrev_b32_e32 v2, 29, v20
	v_cmp_gt_i64_e64 s[0:1], 0, v[1:2]
	v_not_b32_e32 v2, v2
	v_ashrrev_i32_e32 v2, 31, v2
	v_and_b32_e32 v4, v4, v23
	v_xor_b32_e32 v23, s1, v2
	v_xor_b32_e32 v2, s0, v2
	v_and_b32_e32 v3, v3, v2
	v_lshlrev_b32_e32 v2, 28, v20
	v_cmp_gt_i64_e64 s[0:1], 0, v[1:2]
	v_not_b32_e32 v2, v2
	v_ashrrev_i32_e32 v2, 31, v2
	v_and_b32_e32 v4, v4, v23
	v_xor_b32_e32 v23, s1, v2
	v_xor_b32_e32 v2, s0, v2
	v_and_b32_e32 v3, v3, v2
	v_lshlrev_b32_e32 v2, 27, v20
	v_cmp_gt_i64_e64 s[0:1], 0, v[1:2]
	v_not_b32_e32 v2, v2
	v_ashrrev_i32_e32 v2, 31, v2
	v_and_b32_e32 v4, v4, v23
	v_xor_b32_e32 v23, s1, v2
	v_xor_b32_e32 v2, s0, v2
	v_and_b32_e32 v3, v3, v2
	v_lshlrev_b32_e32 v2, 26, v20
	v_cmp_gt_i64_e64 s[0:1], 0, v[1:2]
	v_not_b32_e32 v2, v2
	v_ashrrev_i32_e32 v2, 31, v2
	v_and_b32_e32 v4, v4, v23
	v_xor_b32_e32 v23, s1, v2
	v_xor_b32_e32 v2, s0, v2
	v_and_b32_e32 v3, v3, v2
	v_lshlrev_b32_e32 v2, 25, v20
	v_cmp_gt_i64_e64 s[0:1], 0, v[1:2]
	v_not_b32_e32 v2, v2
	v_ashrrev_i32_e32 v2, 31, v2
	v_and_b32_e32 v4, v4, v23
	v_xor_b32_e32 v23, s1, v2
	v_xor_b32_e32 v2, s0, v2
	v_and_b32_e32 v3, v3, v2
	v_and_b32_e32 v2, 0xff000000, v8
	v_cmp_gt_i64_e64 s[0:1], 0, v[1:2]
	v_not_b32_e32 v1, v2
	v_ashrrev_i32_e32 v1, 31, v1
	v_xor_b32_e32 v2, s1, v1
	v_xor_b32_e32 v1, s0, v1
	; wave barrier
	ds_read_b32 v21, v22 offset:32
	v_and_b32_e32 v4, v4, v23
	v_and_b32_e32 v1, v3, v1
	;; [unrolled: 1-line block ×3, first 2 shown]
	v_mbcnt_lo_u32_b32 v3, v1, 0
	v_mbcnt_hi_u32_b32 v23, v2, v3
	v_cmp_ne_u64_e64 s[0:1], 0, v[1:2]
	v_cmp_eq_u32_e64 s[2:3], 0, v23
	s_and_b64 s[2:3], s[0:1], s[2:3]
	; wave barrier
	s_and_saveexec_b64 s[0:1], s[2:3]
	s_cbranch_execz .LBB6_10
; %bb.9:
	v_bcnt_u32_b32 v1, v1, 0
	v_bcnt_u32_b32 v1, v2, v1
	s_waitcnt lgkmcnt(0)
	v_add_u32_e32 v1, v21, v1
	ds_write_b32 v22, v1 offset:32
.LBB6_10:
	s_or_b64 exec, exec, s[0:1]
	; wave barrier
	s_waitcnt lgkmcnt(0)
	s_barrier
	ds_read2_b64 v[1:4], v9 offset0:4 offset1:5
	s_waitcnt lgkmcnt(0)
	v_add_u32_e32 v24, v2, v1
	v_add3_u32 v4, v24, v3, v4
	v_and_b32_e32 v24, 15, v6
	v_cmp_ne_u32_e64 s[0:1], 0, v24
	v_mov_b32_dpp v25, v4 row_shr:1 row_mask:0xf bank_mask:0xf
	v_cndmask_b32_e64 v25, 0, v25, s[0:1]
	v_add_u32_e32 v4, v25, v4
	v_cmp_lt_u32_e64 s[0:1], 1, v24
	s_nop 0
	v_mov_b32_dpp v25, v4 row_shr:2 row_mask:0xf bank_mask:0xf
	v_cndmask_b32_e64 v25, 0, v25, s[0:1]
	v_add_u32_e32 v4, v4, v25
	v_cmp_lt_u32_e64 s[0:1], 3, v24
	s_nop 0
	;; [unrolled: 5-line block ×3, first 2 shown]
	v_mov_b32_dpp v25, v4 row_shr:8 row_mask:0xf bank_mask:0xf
	v_cndmask_b32_e64 v24, 0, v25, s[0:1]
	v_add_u32_e32 v4, v4, v24
	v_bfe_i32 v25, v6, 4, 1
	v_cmp_lt_u32_e64 s[0:1], 31, v6
	v_mov_b32_dpp v24, v4 row_bcast:15 row_mask:0xf bank_mask:0xf
	v_and_b32_e32 v24, v25, v24
	v_add_u32_e32 v4, v4, v24
	v_or_b32_e32 v25, 63, v0
	s_nop 0
	v_mov_b32_dpp v24, v4 row_bcast:31 row_mask:0xf bank_mask:0xf
	v_cndmask_b32_e64 v24, 0, v24, s[0:1]
	v_add_u32_e32 v4, v4, v24
	v_lshrrev_b32_e32 v24, 6, v0
	v_cmp_eq_u32_e64 s[0:1], v0, v25
	s_and_saveexec_b64 s[2:3], s[0:1]
; %bb.11:
	v_lshlrev_b32_e32 v25, 2, v24
	ds_write_b32 v25, v4
; %bb.12:
	s_or_b64 exec, exec, s[2:3]
	v_cmp_gt_u32_e64 s[0:1], 8, v0
	s_waitcnt lgkmcnt(0)
	s_barrier
	s_and_saveexec_b64 s[2:3], s[0:1]
	s_cbranch_execz .LBB6_14
; %bb.13:
	ds_read_b32 v25, v5
	v_and_b32_e32 v26, 7, v6
	v_cmp_ne_u32_e64 s[0:1], 0, v26
	s_waitcnt lgkmcnt(0)
	v_mov_b32_dpp v27, v25 row_shr:1 row_mask:0xf bank_mask:0xf
	v_cndmask_b32_e64 v27, 0, v27, s[0:1]
	v_add_u32_e32 v25, v27, v25
	v_cmp_lt_u32_e64 s[0:1], 1, v26
	s_nop 0
	v_mov_b32_dpp v27, v25 row_shr:2 row_mask:0xf bank_mask:0xf
	v_cndmask_b32_e64 v27, 0, v27, s[0:1]
	v_add_u32_e32 v25, v25, v27
	v_cmp_lt_u32_e64 s[0:1], 3, v26
	s_nop 0
	v_mov_b32_dpp v27, v25 row_shr:4 row_mask:0xf bank_mask:0xf
	v_cndmask_b32_e64 v26, 0, v27, s[0:1]
	v_add_u32_e32 v25, v25, v26
	ds_write_b32 v5, v25
.LBB6_14:
	s_or_b64 exec, exec, s[2:3]
	v_cmp_lt_u32_e64 s[0:1], 63, v0
	v_mov_b32_e32 v25, 0
	s_waitcnt lgkmcnt(0)
	s_barrier
	s_and_saveexec_b64 s[2:3], s[0:1]
; %bb.15:
	v_lshl_add_u32 v24, v24, 2, -4
	ds_read_b32 v25, v24
; %bb.16:
	s_or_b64 exec, exec, s[2:3]
	v_subrev_co_u32_e64 v24, s[0:1], 1, v6
	v_cmp_lt_i32_e64 s[2:3], v24, v7
	v_cndmask_b32_e64 v6, v24, v6, s[2:3]
	s_waitcnt lgkmcnt(0)
	v_add_u32_e32 v4, v25, v4
	v_lshlrev_b32_e32 v6, 2, v6
	ds_bpermute_b32 v4, v6, v4
	v_cmp_ne_u32_e64 s[2:3], 0, v0
	s_waitcnt lgkmcnt(0)
	v_cndmask_b32_e64 v4, v4, v25, s[0:1]
	v_cmp_eq_u32_e64 s[0:1], 0, v0
	v_cndmask_b32_e64 v6, v4, 0, s[0:1]
	v_add_u32_e32 v7, v6, v1
	v_add_u32_e32 v1, v7, v2
	;; [unrolled: 1-line block ×3, first 2 shown]
	ds_write2_b64 v9, v[6:7], v[1:2] offset0:4 offset1:5
	s_waitcnt lgkmcnt(0)
	s_barrier
	ds_read_b32 v1, v10 offset:32
	ds_read_b32 v2, v14 offset:32
	;; [unrolled: 1-line block ×4, first 2 shown]
	s_waitcnt lgkmcnt(0)
	v_add_u32_e32 v1, v1, v11
	s_barrier
	ds_write_b8 v1, v8
	v_add3_u32 v1, v15, v13, v2
	ds_write_b8 v1, v12
	v_add3_u32 v1, v19, v17, v3
	;; [unrolled: 2-line block ×3, first 2 shown]
	ds_write_b8 v1, v20
	s_waitcnt lgkmcnt(0)
	s_barrier
	ds_read_b32 v1, v5
	s_waitcnt lgkmcnt(0)
	s_barrier
	s_and_saveexec_b64 s[4:5], vcc
; %bb.17:
	v_mov_b32_e32 v2, 0x800
	ds_write2st64_b32 v5, v2, v2 offset0:4 offset1:12
; %bb.18:
	s_or_b64 exec, exec, s[4:5]
	s_movk_i32 s4, 0xff
	v_and_b32_sdwa v3, v1, s4 dst_sel:DWORD dst_unused:UNUSED_PAD src0_sel:WORD_1 src1_sel:DWORD
	v_lshrrev_b32_e32 v2, 24, v1
	v_cmp_ne_u16_e64 s[4:5], v3, v2
	s_waitcnt lgkmcnt(0)
	s_barrier
	ds_write_b8 v0, v2
	s_and_saveexec_b64 s[8:9], s[4:5]
	s_cbranch_execz .LBB6_20
; %bb.19:
	v_mov_b32_e32 v6, 2
	v_lshlrev_b32_sdwa v2, v6, v2 dst_sel:DWORD dst_unused:UNUSED_PAD src0_sel:DWORD src1_sel:WORD_0
	v_or_b32_e32 v6, 3, v5
	v_lshlrev_b32_e32 v4, 2, v3
	ds_write_b32 v2, v6 offset:1024
	ds_write_b32 v4, v6 offset:3072
.LBB6_20:
	s_or_b64 exec, exec, s[8:9]
	v_lshrrev_b32_e32 v2, 8, v1
	v_cmp_ne_u16_sdwa s[8:9], v2, v3 src0_sel:BYTE_0 src1_sel:DWORD
	s_and_saveexec_b64 s[4:5], s[8:9]
	s_cbranch_execz .LBB6_22
; %bb.21:
	v_and_b32_sdwa v3, v1, s7 dst_sel:DWORD dst_unused:UNUSED_PAD src0_sel:WORD_1 src1_sel:DWORD
	v_mov_b32_e32 v4, 2
	v_lshlrev_b32_e32 v3, 2, v3
	v_or_b32_e32 v6, 2, v5
	v_lshlrev_b32_sdwa v4, v4, v2 dst_sel:DWORD dst_unused:UNUSED_PAD src0_sel:DWORD src1_sel:BYTE_0
	ds_write_b32 v3, v6 offset:1024
	ds_write_b32 v4, v6 offset:3072
.LBB6_22:
	s_or_b64 exec, exec, s[4:5]
	v_cmp_ne_u16_sdwa s[8:9], v1, v2 src0_sel:BYTE_0 src1_sel:BYTE_0
	s_and_saveexec_b64 s[4:5], s[8:9]
	s_cbranch_execz .LBB6_24
; %bb.23:
	v_mov_b32_e32 v3, 2
	v_lshlrev_b32_sdwa v4, v3, v1 dst_sel:DWORD dst_unused:UNUSED_PAD src0_sel:DWORD src1_sel:BYTE_0
	v_lshlrev_b32_sdwa v2, v3, v2 dst_sel:DWORD dst_unused:UNUSED_PAD src0_sel:DWORD src1_sel:BYTE_0
	v_or_b32_e32 v3, 1, v5
	ds_write_b32 v2, v3 offset:1024
	ds_write_b32 v4, v3 offset:3072
.LBB6_24:
	s_or_b64 exec, exec, s[4:5]
	s_waitcnt lgkmcnt(0)
	s_barrier
	s_and_saveexec_b64 s[4:5], s[2:3]
	s_cbranch_execz .LBB6_27
; %bb.25:
	v_add_u32_e32 v2, -1, v0
	ds_read_u8 v2, v2
	s_waitcnt lgkmcnt(0)
	v_cmp_ne_u16_sdwa s[2:3], v2, v1 src0_sel:DWORD src1_sel:BYTE_0
	s_and_b64 exec, exec, s[2:3]
	s_cbranch_execz .LBB6_27
; %bb.26:
	v_mov_b32_e32 v3, 2
	v_lshlrev_b32_sdwa v4, v3, v1 dst_sel:DWORD dst_unused:UNUSED_PAD src0_sel:DWORD src1_sel:BYTE_0
	v_lshlrev_b32_sdwa v2, v3, v2 dst_sel:DWORD dst_unused:UNUSED_PAD src0_sel:DWORD src1_sel:WORD_0
	ds_write_b32 v4, v5 offset:1024
	ds_write_b32 v2, v5 offset:3072
.LBB6_27:
	s_or_b64 exec, exec, s[4:5]
	s_waitcnt lgkmcnt(0)
	s_barrier
	s_and_saveexec_b64 s[2:3], s[0:1]
; %bb.28:
	v_mov_b32_e32 v2, 2
	v_lshlrev_b32_sdwa v1, v2, v1 dst_sel:DWORD dst_unused:UNUSED_PAD src0_sel:DWORD src1_sel:BYTE_0
	v_mov_b32_e32 v2, 0
	ds_write_b32 v1, v2 offset:1024
; %bb.29:
	s_or_b64 exec, exec, s[2:3]
	s_waitcnt lgkmcnt(0)
	s_barrier
	s_and_saveexec_b64 s[0:1], vcc
	s_cbranch_execz .LBB6_31
; %bb.30:
	v_mad_u32_u24 v1, v0, 3, v0
	ds_read2st64_b32 v[1:2], v1 offset0:4 offset1:12
	ds_read_u8 v3, v0 offset:8224
	s_waitcnt lgkmcnt(1)
	v_sub_u32_e32 v1, v2, v1
	s_waitcnt lgkmcnt(0)
	v_add_u16_e32 v1, v3, v1
	ds_write_b8 v0, v1 offset:8224
.LBB6_31:
	s_or_b64 exec, exec, s[0:1]
	s_waitcnt lgkmcnt(0)
	s_barrier
	s_and_saveexec_b64 s[0:1], vcc
	s_cbranch_execz .LBB6_33
; %bb.32:
	ds_read_u8 v1, v0 offset:8224
	v_lshl_or_b32 v0, s6, 9, v0
	s_waitcnt lgkmcnt(0)
	global_store_byte v0, v1, s[14:15]
.LBB6_33:
	s_endpgm
	.section	.rodata,"a",@progbits
	.p2align	6, 0x0
	.amdhsa_kernel _Z16histogram_kernelILj512ELj4ELj512ELN6hipcub23BlockHistogramAlgorithmE1EhEvPT3_S3_
		.amdhsa_group_segment_fixed_size 8736
		.amdhsa_private_segment_fixed_size 0
		.amdhsa_kernarg_size 272
		.amdhsa_user_sgpr_count 6
		.amdhsa_user_sgpr_private_segment_buffer 1
		.amdhsa_user_sgpr_dispatch_ptr 0
		.amdhsa_user_sgpr_queue_ptr 0
		.amdhsa_user_sgpr_kernarg_segment_ptr 1
		.amdhsa_user_sgpr_dispatch_id 0
		.amdhsa_user_sgpr_flat_scratch_init 0
		.amdhsa_user_sgpr_private_segment_size 0
		.amdhsa_uses_dynamic_stack 0
		.amdhsa_system_sgpr_private_segment_wavefront_offset 0
		.amdhsa_system_sgpr_workgroup_id_x 1
		.amdhsa_system_sgpr_workgroup_id_y 0
		.amdhsa_system_sgpr_workgroup_id_z 0
		.amdhsa_system_sgpr_workgroup_info 0
		.amdhsa_system_vgpr_workitem_id 2
		.amdhsa_next_free_vgpr 28
		.amdhsa_next_free_sgpr 17
		.amdhsa_reserve_vcc 1
		.amdhsa_reserve_flat_scratch 0
		.amdhsa_float_round_mode_32 0
		.amdhsa_float_round_mode_16_64 0
		.amdhsa_float_denorm_mode_32 3
		.amdhsa_float_denorm_mode_16_64 3
		.amdhsa_dx10_clamp 1
		.amdhsa_ieee_mode 1
		.amdhsa_fp16_overflow 0
		.amdhsa_exception_fp_ieee_invalid_op 0
		.amdhsa_exception_fp_denorm_src 0
		.amdhsa_exception_fp_ieee_div_zero 0
		.amdhsa_exception_fp_ieee_overflow 0
		.amdhsa_exception_fp_ieee_underflow 0
		.amdhsa_exception_fp_ieee_inexact 0
		.amdhsa_exception_int_div_zero 0
	.end_amdhsa_kernel
	.section	.text._Z16histogram_kernelILj512ELj4ELj512ELN6hipcub23BlockHistogramAlgorithmE1EhEvPT3_S3_,"axG",@progbits,_Z16histogram_kernelILj512ELj4ELj512ELN6hipcub23BlockHistogramAlgorithmE1EhEvPT3_S3_,comdat
.Lfunc_end6:
	.size	_Z16histogram_kernelILj512ELj4ELj512ELN6hipcub23BlockHistogramAlgorithmE1EhEvPT3_S3_, .Lfunc_end6-_Z16histogram_kernelILj512ELj4ELj512ELN6hipcub23BlockHistogramAlgorithmE1EhEvPT3_S3_
                                        ; -- End function
	.set _Z16histogram_kernelILj512ELj4ELj512ELN6hipcub23BlockHistogramAlgorithmE1EhEvPT3_S3_.num_vgpr, 28
	.set _Z16histogram_kernelILj512ELj4ELj512ELN6hipcub23BlockHistogramAlgorithmE1EhEvPT3_S3_.num_agpr, 0
	.set _Z16histogram_kernelILj512ELj4ELj512ELN6hipcub23BlockHistogramAlgorithmE1EhEvPT3_S3_.numbered_sgpr, 17
	.set _Z16histogram_kernelILj512ELj4ELj512ELN6hipcub23BlockHistogramAlgorithmE1EhEvPT3_S3_.num_named_barrier, 0
	.set _Z16histogram_kernelILj512ELj4ELj512ELN6hipcub23BlockHistogramAlgorithmE1EhEvPT3_S3_.private_seg_size, 0
	.set _Z16histogram_kernelILj512ELj4ELj512ELN6hipcub23BlockHistogramAlgorithmE1EhEvPT3_S3_.uses_vcc, 1
	.set _Z16histogram_kernelILj512ELj4ELj512ELN6hipcub23BlockHistogramAlgorithmE1EhEvPT3_S3_.uses_flat_scratch, 0
	.set _Z16histogram_kernelILj512ELj4ELj512ELN6hipcub23BlockHistogramAlgorithmE1EhEvPT3_S3_.has_dyn_sized_stack, 0
	.set _Z16histogram_kernelILj512ELj4ELj512ELN6hipcub23BlockHistogramAlgorithmE1EhEvPT3_S3_.has_recursion, 0
	.set _Z16histogram_kernelILj512ELj4ELj512ELN6hipcub23BlockHistogramAlgorithmE1EhEvPT3_S3_.has_indirect_call, 0
	.section	.AMDGPU.csdata,"",@progbits
; Kernel info:
; codeLenInByte = 3732
; TotalNumSgprs: 21
; NumVgprs: 28
; ScratchSize: 0
; MemoryBound: 0
; FloatMode: 240
; IeeeMode: 1
; LDSByteSize: 8736 bytes/workgroup (compile time only)
; SGPRBlocks: 2
; VGPRBlocks: 6
; NumSGPRsForWavesPerEU: 21
; NumVGPRsForWavesPerEU: 28
; Occupancy: 9
; WaveLimiterHint : 0
; COMPUTE_PGM_RSRC2:SCRATCH_EN: 0
; COMPUTE_PGM_RSRC2:USER_SGPR: 6
; COMPUTE_PGM_RSRC2:TRAP_HANDLER: 0
; COMPUTE_PGM_RSRC2:TGID_X_EN: 1
; COMPUTE_PGM_RSRC2:TGID_Y_EN: 0
; COMPUTE_PGM_RSRC2:TGID_Z_EN: 0
; COMPUTE_PGM_RSRC2:TIDIG_COMP_CNT: 2
	.section	.text._Z16histogram_kernelILj256ELj3ELj512ELN6hipcub23BlockHistogramAlgorithmE1EhEvPT3_S3_,"axG",@progbits,_Z16histogram_kernelILj256ELj3ELj512ELN6hipcub23BlockHistogramAlgorithmE1EhEvPT3_S3_,comdat
	.protected	_Z16histogram_kernelILj256ELj3ELj512ELN6hipcub23BlockHistogramAlgorithmE1EhEvPT3_S3_ ; -- Begin function _Z16histogram_kernelILj256ELj3ELj512ELN6hipcub23BlockHistogramAlgorithmE1EhEvPT3_S3_
	.globl	_Z16histogram_kernelILj256ELj3ELj512ELN6hipcub23BlockHistogramAlgorithmE1EhEvPT3_S3_
	.p2align	8
	.type	_Z16histogram_kernelILj256ELj3ELj512ELN6hipcub23BlockHistogramAlgorithmE1EhEvPT3_S3_,@function
_Z16histogram_kernelILj256ELj3ELj512ELN6hipcub23BlockHistogramAlgorithmE1EhEvPT3_S3_: ; @_Z16histogram_kernelILj256ELj3ELj512ELN6hipcub23BlockHistogramAlgorithmE1EhEvPT3_S3_
; %bb.0:
	s_load_dwordx4 s[8:11], s[4:5], 0x0
	v_lshl_or_b32 v3, s6, 8, v0
	v_lshl_add_u32 v6, v3, 1, v3
	v_add_u32_e32 v7, 1, v6
	v_add_u32_e32 v8, 2, v6
	s_waitcnt lgkmcnt(0)
	global_load_ubyte v3, v6, s[8:9]
	global_load_ubyte v4, v7, s[8:9]
	;; [unrolled: 1-line block ×3, first 2 shown]
	s_movk_i32 s0, 0x200
	v_cmp_gt_u32_e64 s[0:1], s0, v0
	s_and_saveexec_b64 s[2:3], s[0:1]
; %bb.1:
	v_mov_b32_e32 v6, 0
	ds_write_b8 v0, v6 offset:4608
; %bb.2:
	s_or_b64 exec, exec, s[2:3]
	s_movk_i32 s2, 0x100
	v_cmp_gt_u32_e32 vcc, s2, v0
	s_and_saveexec_b64 s[2:3], vcc
; %bb.3:
	v_mov_b32_e32 v6, 0
	ds_write_b8 v0, v6 offset:4864
; %bb.4:
	s_or_b64 exec, exec, s[2:3]
	v_mbcnt_lo_u32_b32 v6, -1, 0
	v_lshrrev_b32_e32 v9, 6, v0
	v_mbcnt_hi_u32_b32 v8, -1, v6
	v_mul_u32_u24_e32 v6, 0xc0, v9
	s_movk_i32 s2, 0xc0
	v_mad_u32_u24 v6, v8, 3, v6
	s_waitcnt vmcnt(0) lgkmcnt(0)
	s_barrier
	ds_write_b8 v6, v3
	ds_write_b8 v6, v4 offset:1
	ds_write_b8 v6, v5 offset:2
	v_mad_u32_u24 v3, v9, s2, v8
	; wave barrier
	ds_read_u8 v7, v3
	ds_read_u8 v6, v3 offset:64
	ds_read_u8 v5, v3 offset:128
	; wave barrier
	; wave barrier
	s_waitcnt lgkmcnt(0)
	s_barrier
	s_load_dword s3, s[4:5], 0x1c
	s_mov_b32 s2, 0
	v_lshlrev_b32_e32 v10, 4, v0
	v_mov_b32_e32 v13, 4
	s_waitcnt lgkmcnt(0)
	s_lshr_b32 s4, s3, 16
	s_and_b32 s3, s3, 0xffff
	v_mad_u32_u24 v1, v2, s4, v1
	v_mad_u64_u32 v[1:2], s[4:5], v1, s3, v[0:1]
	s_mov_b32 s5, s2
	s_mov_b32 s3, s2
	;; [unrolled: 1-line block ×3, first 2 shown]
	v_mov_b32_e32 v2, s2
	v_mov_b32_e32 v12, s5
	;; [unrolled: 1-line block ×4, first 2 shown]
	ds_write2_b64 v10, v[2:3], v[11:12] offset0:2 offset1:3
	v_and_b32_e32 v2, 1, v7
	v_add_co_u32_e64 v3, s[2:3], -1, v2
	v_addc_co_u32_e64 v11, s[2:3], 0, -1, s[2:3]
	v_cmp_ne_u32_e64 s[2:3], 0, v2
	v_lshrrev_b32_e32 v1, 4, v1
	v_xor_b32_e32 v2, s3, v11
	v_and_b32_e32 v4, 0xffffffc, v1
	v_mov_b32_e32 v1, 0
	v_and_b32_e32 v11, exec_hi, v2
	v_lshlrev_b32_e32 v2, 30, v7
	v_xor_b32_e32 v3, s2, v3
	v_cmp_gt_i64_e64 s[2:3], 0, v[1:2]
	v_not_b32_e32 v2, v2
	v_ashrrev_i32_e32 v2, 31, v2
	v_and_b32_e32 v3, exec_lo, v3
	v_xor_b32_e32 v14, s3, v2
	v_xor_b32_e32 v2, s2, v2
	v_and_b32_e32 v3, v3, v2
	v_lshlrev_b32_e32 v2, 29, v7
	v_cmp_gt_i64_e64 s[2:3], 0, v[1:2]
	v_not_b32_e32 v2, v2
	v_ashrrev_i32_e32 v2, 31, v2
	v_and_b32_e32 v11, v11, v14
	v_xor_b32_e32 v14, s3, v2
	v_xor_b32_e32 v2, s2, v2
	v_and_b32_e32 v3, v3, v2
	v_lshlrev_b32_e32 v2, 28, v7
	v_cmp_gt_i64_e64 s[2:3], 0, v[1:2]
	v_not_b32_e32 v2, v2
	v_ashrrev_i32_e32 v2, 31, v2
	v_and_b32_e32 v11, v11, v14
	;; [unrolled: 8-line block ×5, first 2 shown]
	v_xor_b32_e32 v14, s3, v2
	v_xor_b32_e32 v2, s2, v2
	v_and_b32_e32 v11, v11, v14
	v_and_b32_e32 v14, v3, v2
	v_lshlrev_b32_e32 v2, 24, v7
	v_cmp_gt_i64_e64 s[2:3], 0, v[1:2]
	v_not_b32_e32 v2, v2
	v_ashrrev_i32_e32 v2, 31, v2
	v_xor_b32_e32 v3, s3, v2
	v_xor_b32_e32 v2, s2, v2
	v_and_b32_e32 v2, v14, v2
	v_and_b32_e32 v3, v11, v3
	v_mbcnt_lo_u32_b32 v11, v2, 0
	v_mbcnt_hi_u32_b32 v11, v3, v11
	v_cmp_ne_u64_e64 s[2:3], 0, v[2:3]
	v_lshlrev_b32_sdwa v12, v13, v7 dst_sel:DWORD dst_unused:UNUSED_PAD src0_sel:DWORD src1_sel:BYTE_0
	v_cmp_eq_u32_e64 s[4:5], 0, v11
	s_and_b64 s[4:5], s[2:3], s[4:5]
	v_add_u32_e32 v12, v4, v12
	s_waitcnt lgkmcnt(0)
	s_barrier
	; wave barrier
	s_and_saveexec_b64 s[2:3], s[4:5]
; %bb.5:
	v_bcnt_u32_b32 v2, v2, 0
	v_bcnt_u32_b32 v2, v3, v2
	ds_write_b32 v12, v2 offset:16
; %bb.6:
	s_or_b64 exec, exec, s[2:3]
	v_lshlrev_b32_sdwa v2, v13, v6 dst_sel:DWORD dst_unused:UNUSED_PAD src0_sel:DWORD src1_sel:BYTE_0
	v_add_u32_e32 v14, v4, v2
	v_and_b32_e32 v2, 1, v6
	v_add_co_u32_e64 v3, s[2:3], -1, v2
	v_addc_co_u32_e64 v15, s[2:3], 0, -1, s[2:3]
	v_cmp_ne_u32_e64 s[2:3], 0, v2
	v_xor_b32_e32 v2, s3, v15
	v_and_b32_e32 v15, exec_hi, v2
	v_lshlrev_b32_e32 v2, 30, v6
	v_xor_b32_e32 v3, s2, v3
	v_cmp_gt_i64_e64 s[2:3], 0, v[1:2]
	v_not_b32_e32 v2, v2
	v_ashrrev_i32_e32 v2, 31, v2
	v_and_b32_e32 v3, exec_lo, v3
	v_xor_b32_e32 v16, s3, v2
	v_xor_b32_e32 v2, s2, v2
	v_and_b32_e32 v3, v3, v2
	v_lshlrev_b32_e32 v2, 29, v6
	v_cmp_gt_i64_e64 s[2:3], 0, v[1:2]
	v_not_b32_e32 v2, v2
	v_ashrrev_i32_e32 v2, 31, v2
	v_and_b32_e32 v15, v15, v16
	v_xor_b32_e32 v16, s3, v2
	v_xor_b32_e32 v2, s2, v2
	v_and_b32_e32 v3, v3, v2
	v_lshlrev_b32_e32 v2, 28, v6
	v_cmp_gt_i64_e64 s[2:3], 0, v[1:2]
	v_not_b32_e32 v2, v2
	v_ashrrev_i32_e32 v2, 31, v2
	v_and_b32_e32 v15, v15, v16
	;; [unrolled: 8-line block ×5, first 2 shown]
	v_xor_b32_e32 v16, s3, v2
	v_xor_b32_e32 v2, s2, v2
	v_and_b32_e32 v3, v3, v2
	v_lshlrev_b32_e32 v2, 24, v6
	v_cmp_gt_i64_e64 s[2:3], 0, v[1:2]
	v_not_b32_e32 v1, v2
	v_ashrrev_i32_e32 v1, 31, v1
	v_xor_b32_e32 v2, s3, v1
	v_xor_b32_e32 v1, s2, v1
	; wave barrier
	ds_read_b32 v13, v14 offset:16
	v_and_b32_e32 v15, v15, v16
	v_and_b32_e32 v1, v3, v1
	;; [unrolled: 1-line block ×3, first 2 shown]
	v_mbcnt_lo_u32_b32 v3, v1, 0
	v_mbcnt_hi_u32_b32 v15, v2, v3
	v_cmp_ne_u64_e64 s[2:3], 0, v[1:2]
	v_cmp_eq_u32_e64 s[4:5], 0, v15
	s_and_b64 s[4:5], s[2:3], s[4:5]
	; wave barrier
	s_and_saveexec_b64 s[2:3], s[4:5]
	s_cbranch_execz .LBB7_8
; %bb.7:
	v_bcnt_u32_b32 v1, v1, 0
	v_bcnt_u32_b32 v1, v2, v1
	s_waitcnt lgkmcnt(0)
	v_add_u32_e32 v1, v13, v1
	ds_write_b32 v14, v1 offset:16
.LBB7_8:
	s_or_b64 exec, exec, s[2:3]
	v_mov_b32_e32 v1, 4
	v_and_b32_e32 v2, 1, v5
	v_lshlrev_b32_sdwa v1, v1, v5 dst_sel:DWORD dst_unused:UNUSED_PAD src0_sel:DWORD src1_sel:BYTE_0
	v_add_co_u32_e64 v3, s[2:3], -1, v2
	v_add_u32_e32 v17, v4, v1
	v_addc_co_u32_e64 v4, s[2:3], 0, -1, s[2:3]
	v_cmp_ne_u32_e64 s[2:3], 0, v2
	v_xor_b32_e32 v2, s3, v4
	v_mov_b32_e32 v1, 0
	v_and_b32_e32 v4, exec_hi, v2
	v_lshlrev_b32_e32 v2, 30, v5
	v_xor_b32_e32 v3, s2, v3
	v_cmp_gt_i64_e64 s[2:3], 0, v[1:2]
	v_not_b32_e32 v2, v2
	v_ashrrev_i32_e32 v2, 31, v2
	v_and_b32_e32 v3, exec_lo, v3
	v_xor_b32_e32 v18, s3, v2
	v_xor_b32_e32 v2, s2, v2
	v_and_b32_e32 v3, v3, v2
	v_lshlrev_b32_e32 v2, 29, v5
	v_cmp_gt_i64_e64 s[2:3], 0, v[1:2]
	v_not_b32_e32 v2, v2
	v_ashrrev_i32_e32 v2, 31, v2
	v_and_b32_e32 v4, v4, v18
	v_xor_b32_e32 v18, s3, v2
	v_xor_b32_e32 v2, s2, v2
	v_and_b32_e32 v3, v3, v2
	v_lshlrev_b32_e32 v2, 28, v5
	v_cmp_gt_i64_e64 s[2:3], 0, v[1:2]
	v_not_b32_e32 v2, v2
	v_ashrrev_i32_e32 v2, 31, v2
	v_and_b32_e32 v4, v4, v18
	;; [unrolled: 8-line block ×5, first 2 shown]
	v_xor_b32_e32 v18, s3, v2
	v_xor_b32_e32 v2, s2, v2
	v_and_b32_e32 v3, v3, v2
	v_lshlrev_b32_e32 v2, 24, v5
	v_cmp_gt_i64_e64 s[2:3], 0, v[1:2]
	v_not_b32_e32 v1, v2
	v_ashrrev_i32_e32 v1, 31, v1
	v_xor_b32_e32 v2, s3, v1
	v_xor_b32_e32 v1, s2, v1
	; wave barrier
	ds_read_b32 v16, v17 offset:16
	v_and_b32_e32 v4, v4, v18
	v_and_b32_e32 v1, v3, v1
	;; [unrolled: 1-line block ×3, first 2 shown]
	v_mbcnt_lo_u32_b32 v3, v1, 0
	v_mbcnt_hi_u32_b32 v18, v2, v3
	v_cmp_ne_u64_e64 s[2:3], 0, v[1:2]
	v_cmp_eq_u32_e64 s[4:5], 0, v18
	s_and_b64 s[4:5], s[2:3], s[4:5]
	; wave barrier
	s_and_saveexec_b64 s[2:3], s[4:5]
	s_cbranch_execz .LBB7_10
; %bb.9:
	v_bcnt_u32_b32 v1, v1, 0
	v_bcnt_u32_b32 v1, v2, v1
	s_waitcnt lgkmcnt(0)
	v_add_u32_e32 v1, v16, v1
	ds_write_b32 v17, v1 offset:16
.LBB7_10:
	s_or_b64 exec, exec, s[2:3]
	; wave barrier
	s_waitcnt lgkmcnt(0)
	s_barrier
	ds_read2_b64 v[1:4], v10 offset0:2 offset1:3
	s_waitcnt lgkmcnt(0)
	v_add_u32_e32 v19, v2, v1
	v_add3_u32 v4, v19, v3, v4
	v_and_b32_e32 v19, 15, v8
	v_cmp_ne_u32_e64 s[2:3], 0, v19
	v_mov_b32_dpp v20, v4 row_shr:1 row_mask:0xf bank_mask:0xf
	v_cndmask_b32_e64 v20, 0, v20, s[2:3]
	v_add_u32_e32 v4, v20, v4
	v_cmp_lt_u32_e64 s[2:3], 1, v19
	s_nop 0
	v_mov_b32_dpp v20, v4 row_shr:2 row_mask:0xf bank_mask:0xf
	v_cndmask_b32_e64 v20, 0, v20, s[2:3]
	v_add_u32_e32 v4, v4, v20
	v_cmp_lt_u32_e64 s[2:3], 3, v19
	s_nop 0
	;; [unrolled: 5-line block ×3, first 2 shown]
	v_mov_b32_dpp v20, v4 row_shr:8 row_mask:0xf bank_mask:0xf
	v_cndmask_b32_e64 v19, 0, v20, s[2:3]
	v_add_u32_e32 v4, v4, v19
	v_bfe_i32 v20, v8, 4, 1
	v_cmp_lt_u32_e64 s[2:3], 31, v8
	v_mov_b32_dpp v19, v4 row_bcast:15 row_mask:0xf bank_mask:0xf
	v_and_b32_e32 v19, v20, v19
	v_add_u32_e32 v4, v4, v19
	s_nop 1
	v_mov_b32_dpp v19, v4 row_bcast:31 row_mask:0xf bank_mask:0xf
	v_cndmask_b32_e64 v19, 0, v19, s[2:3]
	v_add_u32_e32 v4, v4, v19
	v_or_b32_e32 v19, 63, v0
	v_cmp_eq_u32_e64 s[2:3], v0, v19
	s_and_saveexec_b64 s[4:5], s[2:3]
; %bb.11:
	v_lshlrev_b32_e32 v19, 2, v9
	ds_write_b32 v19, v4
; %bb.12:
	s_or_b64 exec, exec, s[4:5]
	v_cmp_gt_u32_e64 s[2:3], 4, v0
	s_waitcnt lgkmcnt(0)
	s_barrier
	s_and_saveexec_b64 s[4:5], s[2:3]
	s_cbranch_execz .LBB7_14
; %bb.13:
	v_mad_i32_i24 v19, v0, -12, v10
	ds_read_b32 v20, v19
	v_and_b32_e32 v21, 3, v8
	v_cmp_ne_u32_e64 s[2:3], 0, v21
	s_waitcnt lgkmcnt(0)
	v_mov_b32_dpp v22, v20 row_shr:1 row_mask:0xf bank_mask:0xf
	v_cndmask_b32_e64 v22, 0, v22, s[2:3]
	v_add_u32_e32 v20, v22, v20
	v_cmp_lt_u32_e64 s[2:3], 1, v21
	s_nop 0
	v_mov_b32_dpp v22, v20 row_shr:2 row_mask:0xf bank_mask:0xf
	v_cndmask_b32_e64 v21, 0, v22, s[2:3]
	v_add_u32_e32 v20, v20, v21
	ds_write_b32 v19, v20
.LBB7_14:
	s_or_b64 exec, exec, s[4:5]
	v_cmp_lt_u32_e64 s[2:3], 63, v0
	v_mov_b32_e32 v19, 0
	s_waitcnt lgkmcnt(0)
	s_barrier
	s_and_saveexec_b64 s[4:5], s[2:3]
; %bb.15:
	v_lshl_add_u32 v9, v9, 2, -4
	ds_read_b32 v19, v9
; %bb.16:
	s_or_b64 exec, exec, s[4:5]
	v_subrev_co_u32_e64 v9, s[2:3], 1, v8
	v_and_b32_e32 v20, 64, v8
	v_cmp_lt_i32_e64 s[4:5], v9, v20
	v_cndmask_b32_e64 v8, v9, v8, s[4:5]
	s_waitcnt lgkmcnt(0)
	v_add_u32_e32 v4, v19, v4
	v_lshlrev_b32_e32 v8, 2, v8
	ds_bpermute_b32 v4, v8, v4
	v_cmp_ne_u32_e64 s[4:5], 0, v0
	s_waitcnt lgkmcnt(0)
	v_cndmask_b32_e64 v4, v4, v19, s[2:3]
	v_cmp_eq_u32_e64 s[2:3], 0, v0
	v_cndmask_b32_e64 v8, v4, 0, s[2:3]
	v_add_u32_e32 v9, v8, v1
	v_add_u32_e32 v1, v9, v2
	v_add_u32_e32 v2, v1, v3
	ds_write2_b64 v10, v[8:9], v[1:2] offset0:2 offset1:3
	s_waitcnt lgkmcnt(0)
	s_barrier
	ds_read_b32 v1, v12 offset:16
	ds_read_b32 v2, v14 offset:16
	;; [unrolled: 1-line block ×3, first 2 shown]
	s_waitcnt lgkmcnt(0)
	s_barrier
	v_add_u32_e32 v1, v1, v11
	ds_write_b8 v1, v7
	v_add3_u32 v1, v15, v13, v2
	ds_write_b8 v1, v6
	v_add3_u32 v1, v18, v16, v3
	ds_write_b8 v1, v5
	v_mul_u32_u24_e32 v1, 3, v0
	s_waitcnt lgkmcnt(0)
	s_barrier
	ds_read_u8 v2, v1
	ds_read_u8 v3, v1 offset:1
	ds_read_u8 v4, v1 offset:2
	s_waitcnt lgkmcnt(0)
	s_barrier
	s_and_saveexec_b64 s[8:9], s[0:1]
	s_cbranch_execz .LBB7_19
; %bb.17:
	v_add_u32_e32 v5, v1, v0
	v_mov_b32_e32 v6, 0x300
	ds_write2st64_b32 v5, v6, v6 offset0:2 offset1:10
	s_and_b64 exec, exec, vcc
; %bb.18:
	ds_write2st64_b32 v5, v6, v6 offset0:6 offset1:14
.LBB7_19:
	s_or_b64 exec, exec, s[8:9]
	v_cmp_ne_u16_sdwa s[12:13], v3, v4 src0_sel:BYTE_0 src1_sel:BYTE_0
	s_waitcnt lgkmcnt(0)
	s_barrier
	ds_write_b8 v0, v4
	s_and_saveexec_b64 s[8:9], s[12:13]
	s_cbranch_execz .LBB7_21
; %bb.20:
	v_mov_b32_e32 v5, 2
	v_lshlrev_b32_sdwa v6, v5, v3 dst_sel:DWORD dst_unused:UNUSED_PAD src0_sel:DWORD src1_sel:BYTE_0
	v_lshlrev_b32_sdwa v4, v5, v4 dst_sel:DWORD dst_unused:UNUSED_PAD src0_sel:DWORD src1_sel:BYTE_0
	v_add_u32_e32 v5, 2, v1
	ds_write_b32 v4, v5 offset:512
	ds_write_b32 v6, v5 offset:2560
.LBB7_21:
	s_or_b64 exec, exec, s[8:9]
	v_cmp_ne_u16_sdwa s[12:13], v2, v3 src0_sel:BYTE_0 src1_sel:BYTE_0
	s_and_saveexec_b64 s[8:9], s[12:13]
	s_cbranch_execz .LBB7_23
; %bb.22:
	v_mov_b32_e32 v4, 2
	v_lshlrev_b32_sdwa v5, v4, v2 dst_sel:DWORD dst_unused:UNUSED_PAD src0_sel:DWORD src1_sel:BYTE_0
	v_lshlrev_b32_sdwa v3, v4, v3 dst_sel:DWORD dst_unused:UNUSED_PAD src0_sel:DWORD src1_sel:BYTE_0
	v_add_u32_e32 v4, 1, v1
	ds_write_b32 v3, v4 offset:512
	ds_write_b32 v5, v4 offset:2560
.LBB7_23:
	s_or_b64 exec, exec, s[8:9]
	s_waitcnt lgkmcnt(0)
	s_barrier
	s_and_saveexec_b64 s[8:9], s[4:5]
	s_cbranch_execz .LBB7_26
; %bb.24:
	v_add_u32_e32 v3, -1, v0
	ds_read_u8 v4, v3
	s_waitcnt lgkmcnt(0)
	v_cmp_ne_u16_sdwa s[4:5], v4, v2 src0_sel:DWORD src1_sel:BYTE_0
	s_and_b64 exec, exec, s[4:5]
	s_cbranch_execz .LBB7_26
; %bb.25:
	v_mov_b32_e32 v4, 2
	v_lshlrev_b32_sdwa v4, v4, v2 dst_sel:DWORD dst_unused:UNUSED_PAD src0_sel:DWORD src1_sel:BYTE_0
	ds_write_b32 v4, v1 offset:512
	ds_read_u8 v3, v3
	s_waitcnt lgkmcnt(0)
	v_lshlrev_b32_e32 v3, 2, v3
	ds_write_b32 v3, v1 offset:2560
.LBB7_26:
	s_or_b64 exec, exec, s[8:9]
	s_waitcnt lgkmcnt(0)
	s_barrier
	s_and_saveexec_b64 s[4:5], s[2:3]
; %bb.27:
	v_mov_b32_e32 v3, 2
	v_lshlrev_b32_sdwa v2, v3, v2 dst_sel:DWORD dst_unused:UNUSED_PAD src0_sel:DWORD src1_sel:BYTE_0
	v_mov_b32_e32 v3, 0
	ds_write_b32 v2, v3 offset:512
; %bb.28:
	s_or_b64 exec, exec, s[4:5]
	v_add_u32_e32 v1, v0, v1
	s_waitcnt lgkmcnt(0)
	s_barrier
	s_and_saveexec_b64 s[2:3], s[0:1]
	s_cbranch_execz .LBB7_30
; %bb.29:
	ds_read2st64_b32 v[2:3], v1 offset0:2 offset1:10
	ds_read_u8 v4, v0 offset:4608
	s_waitcnt lgkmcnt(1)
	v_sub_u32_e32 v2, v3, v2
	s_waitcnt lgkmcnt(0)
	v_add_u16_e32 v2, v4, v2
	ds_write_b8 v0, v2 offset:4608
.LBB7_30:
	s_or_b64 exec, exec, s[2:3]
	s_and_saveexec_b64 s[2:3], vcc
	s_cbranch_execz .LBB7_32
; %bb.31:
	ds_read2st64_b32 v[1:2], v1 offset0:6 offset1:14
	ds_read_u8 v3, v0 offset:4864
	s_waitcnt lgkmcnt(1)
	v_sub_u32_e32 v1, v2, v1
	s_waitcnt lgkmcnt(0)
	v_add_u16_e32 v1, v3, v1
	ds_write_b8 v0, v1 offset:4864
.LBB7_32:
	s_or_b64 exec, exec, s[2:3]
	s_lshl_b32 s4, s6, 9
	v_mov_b32_e32 v1, s4
	s_waitcnt lgkmcnt(0)
	s_barrier
	s_and_saveexec_b64 s[2:3], s[0:1]
	s_cbranch_execnz .LBB7_35
; %bb.33:
	s_or_b64 exec, exec, s[2:3]
	s_and_saveexec_b64 s[0:1], vcc
	s_cbranch_execnz .LBB7_36
.LBB7_34:
	s_endpgm
.LBB7_35:
	ds_read_u8 v1, v0 offset:4608
	s_or_b32 s0, s4, 0x100
	v_or_b32_e32 v2, s4, v0
	s_waitcnt lgkmcnt(0)
	global_store_byte v2, v1, s[10:11]
	v_mov_b32_e32 v1, s0
	s_or_b64 exec, exec, s[2:3]
	s_and_saveexec_b64 s[0:1], vcc
	s_cbranch_execz .LBB7_34
.LBB7_36:
	ds_read_u8 v2, v0 offset:4864
	v_add_u32_e32 v0, v1, v0
	s_waitcnt lgkmcnt(0)
	global_store_byte v0, v2, s[10:11]
	s_endpgm
	.section	.rodata,"a",@progbits
	.p2align	6, 0x0
	.amdhsa_kernel _Z16histogram_kernelILj256ELj3ELj512ELN6hipcub23BlockHistogramAlgorithmE1EhEvPT3_S3_
		.amdhsa_group_segment_fixed_size 5120
		.amdhsa_private_segment_fixed_size 0
		.amdhsa_kernarg_size 272
		.amdhsa_user_sgpr_count 6
		.amdhsa_user_sgpr_private_segment_buffer 1
		.amdhsa_user_sgpr_dispatch_ptr 0
		.amdhsa_user_sgpr_queue_ptr 0
		.amdhsa_user_sgpr_kernarg_segment_ptr 1
		.amdhsa_user_sgpr_dispatch_id 0
		.amdhsa_user_sgpr_flat_scratch_init 0
		.amdhsa_user_sgpr_private_segment_size 0
		.amdhsa_uses_dynamic_stack 0
		.amdhsa_system_sgpr_private_segment_wavefront_offset 0
		.amdhsa_system_sgpr_workgroup_id_x 1
		.amdhsa_system_sgpr_workgroup_id_y 0
		.amdhsa_system_sgpr_workgroup_id_z 0
		.amdhsa_system_sgpr_workgroup_info 0
		.amdhsa_system_vgpr_workitem_id 2
		.amdhsa_next_free_vgpr 23
		.amdhsa_next_free_sgpr 14
		.amdhsa_reserve_vcc 1
		.amdhsa_reserve_flat_scratch 0
		.amdhsa_float_round_mode_32 0
		.amdhsa_float_round_mode_16_64 0
		.amdhsa_float_denorm_mode_32 3
		.amdhsa_float_denorm_mode_16_64 3
		.amdhsa_dx10_clamp 1
		.amdhsa_ieee_mode 1
		.amdhsa_fp16_overflow 0
		.amdhsa_exception_fp_ieee_invalid_op 0
		.amdhsa_exception_fp_denorm_src 0
		.amdhsa_exception_fp_ieee_div_zero 0
		.amdhsa_exception_fp_ieee_overflow 0
		.amdhsa_exception_fp_ieee_underflow 0
		.amdhsa_exception_fp_ieee_inexact 0
		.amdhsa_exception_int_div_zero 0
	.end_amdhsa_kernel
	.section	.text._Z16histogram_kernelILj256ELj3ELj512ELN6hipcub23BlockHistogramAlgorithmE1EhEvPT3_S3_,"axG",@progbits,_Z16histogram_kernelILj256ELj3ELj512ELN6hipcub23BlockHistogramAlgorithmE1EhEvPT3_S3_,comdat
.Lfunc_end7:
	.size	_Z16histogram_kernelILj256ELj3ELj512ELN6hipcub23BlockHistogramAlgorithmE1EhEvPT3_S3_, .Lfunc_end7-_Z16histogram_kernelILj256ELj3ELj512ELN6hipcub23BlockHistogramAlgorithmE1EhEvPT3_S3_
                                        ; -- End function
	.set _Z16histogram_kernelILj256ELj3ELj512ELN6hipcub23BlockHistogramAlgorithmE1EhEvPT3_S3_.num_vgpr, 23
	.set _Z16histogram_kernelILj256ELj3ELj512ELN6hipcub23BlockHistogramAlgorithmE1EhEvPT3_S3_.num_agpr, 0
	.set _Z16histogram_kernelILj256ELj3ELj512ELN6hipcub23BlockHistogramAlgorithmE1EhEvPT3_S3_.numbered_sgpr, 14
	.set _Z16histogram_kernelILj256ELj3ELj512ELN6hipcub23BlockHistogramAlgorithmE1EhEvPT3_S3_.num_named_barrier, 0
	.set _Z16histogram_kernelILj256ELj3ELj512ELN6hipcub23BlockHistogramAlgorithmE1EhEvPT3_S3_.private_seg_size, 0
	.set _Z16histogram_kernelILj256ELj3ELj512ELN6hipcub23BlockHistogramAlgorithmE1EhEvPT3_S3_.uses_vcc, 1
	.set _Z16histogram_kernelILj256ELj3ELj512ELN6hipcub23BlockHistogramAlgorithmE1EhEvPT3_S3_.uses_flat_scratch, 0
	.set _Z16histogram_kernelILj256ELj3ELj512ELN6hipcub23BlockHistogramAlgorithmE1EhEvPT3_S3_.has_dyn_sized_stack, 0
	.set _Z16histogram_kernelILj256ELj3ELj512ELN6hipcub23BlockHistogramAlgorithmE1EhEvPT3_S3_.has_recursion, 0
	.set _Z16histogram_kernelILj256ELj3ELj512ELN6hipcub23BlockHistogramAlgorithmE1EhEvPT3_S3_.has_indirect_call, 0
	.section	.AMDGPU.csdata,"",@progbits
; Kernel info:
; codeLenInByte = 2712
; TotalNumSgprs: 18
; NumVgprs: 23
; ScratchSize: 0
; MemoryBound: 0
; FloatMode: 240
; IeeeMode: 1
; LDSByteSize: 5120 bytes/workgroup (compile time only)
; SGPRBlocks: 2
; VGPRBlocks: 5
; NumSGPRsForWavesPerEU: 18
; NumVGPRsForWavesPerEU: 23
; Occupancy: 10
; WaveLimiterHint : 0
; COMPUTE_PGM_RSRC2:SCRATCH_EN: 0
; COMPUTE_PGM_RSRC2:USER_SGPR: 6
; COMPUTE_PGM_RSRC2:TRAP_HANDLER: 0
; COMPUTE_PGM_RSRC2:TGID_X_EN: 1
; COMPUTE_PGM_RSRC2:TGID_Y_EN: 0
; COMPUTE_PGM_RSRC2:TGID_Z_EN: 0
; COMPUTE_PGM_RSRC2:TIDIG_COMP_CNT: 2
	.section	.text._Z16histogram_kernelILj32ELj2ELj64ELN6hipcub23BlockHistogramAlgorithmE1EhEvPT3_S3_,"axG",@progbits,_Z16histogram_kernelILj32ELj2ELj64ELN6hipcub23BlockHistogramAlgorithmE1EhEvPT3_S3_,comdat
	.protected	_Z16histogram_kernelILj32ELj2ELj64ELN6hipcub23BlockHistogramAlgorithmE1EhEvPT3_S3_ ; -- Begin function _Z16histogram_kernelILj32ELj2ELj64ELN6hipcub23BlockHistogramAlgorithmE1EhEvPT3_S3_
	.globl	_Z16histogram_kernelILj32ELj2ELj64ELN6hipcub23BlockHistogramAlgorithmE1EhEvPT3_S3_
	.p2align	8
	.type	_Z16histogram_kernelILj32ELj2ELj64ELN6hipcub23BlockHistogramAlgorithmE1EhEvPT3_S3_,@function
_Z16histogram_kernelILj32ELj2ELj64ELN6hipcub23BlockHistogramAlgorithmE1EhEvPT3_S3_: ; @_Z16histogram_kernelILj32ELj2ELj64ELN6hipcub23BlockHistogramAlgorithmE1EhEvPT3_S3_
; %bb.0:
	s_load_dwordx4 s[20:23], s[4:5], 0x0
	s_lshl_b32 s24, s6, 6
	v_lshlrev_b32_e32 v9, 1, v0
	v_or_b32_e32 v1, s24, v9
	v_cmp_gt_u32_e64 s[0:1], 64, v0
	s_waitcnt lgkmcnt(0)
	global_load_ushort v12, v1, s[20:21]
	s_and_saveexec_b64 s[2:3], s[0:1]
; %bb.1:
	v_mov_b32_e32 v1, 0
	ds_write_b8 v0, v1 offset:1040
; %bb.2:
	s_or_b64 exec, exec, s[2:3]
	v_cmp_gt_u32_e32 vcc, 32, v0
	s_and_saveexec_b64 s[2:3], vcc
; %bb.3:
	v_mov_b32_e32 v1, 0
	ds_write_b8 v0, v1 offset:1072
; %bb.4:
	s_or_b64 exec, exec, s[2:3]
	s_movk_i32 s2, 0x100
	v_lshlrev_b32_e32 v11, 5, v0
	s_movk_i32 s4, 0xffe2
	v_cmp_gt_u32_e64 s[2:3], s2, v0
	v_mad_i32_i24 v10, v0, s4, v11
	s_waitcnt lgkmcnt(0)
	; wave barrier
	s_and_saveexec_b64 s[6:7], s[2:3]
	s_cbranch_execz .LBB8_13
; %bb.5:
	s_movk_i32 s4, 0xe0
	v_add_u32_e32 v1, v10, v9
	v_mov_b32_e32 v2, 0
	v_cmp_gt_u32_e64 s[4:5], s4, v0
	ds_write_b32 v1, v2
	s_and_b64 exec, exec, s[4:5]
	s_cbranch_execz .LBB8_13
; %bb.6:
	s_movk_i32 s4, 0xc0
	v_cmp_gt_u32_e64 s[4:5], s4, v0
	ds_write_b32 v1, v2 offset:128
	s_and_b64 exec, exec, s[4:5]
	s_cbranch_execz .LBB8_13
; %bb.7:
	s_movk_i32 s4, 0xa0
	v_mov_b32_e32 v2, 0
	v_cmp_gt_u32_e64 s[4:5], s4, v0
	ds_write_b32 v1, v2 offset:256
	s_and_b64 exec, exec, s[4:5]
	s_cbranch_execz .LBB8_13
; %bb.8:
	s_movk_i32 s4, 0x80
	v_cmp_gt_u32_e64 s[4:5], s4, v0
	ds_write_b32 v1, v2 offset:384
	s_and_b64 exec, exec, s[4:5]
	s_cbranch_execz .LBB8_13
; %bb.9:
	s_movk_i32 s4, 0x60
	v_mov_b32_e32 v2, 0
	v_cmp_gt_u32_e64 s[4:5], s4, v0
	ds_write_b32 v1, v2 offset:512
	s_and_b64 exec, exec, s[4:5]
	s_cbranch_execz .LBB8_13
; %bb.10:
	ds_write_b32 v1, v2 offset:640
	s_and_b64 exec, exec, s[0:1]
	s_cbranch_execz .LBB8_13
; %bb.11:
	v_mov_b32_e32 v2, 0
	ds_write_b32 v1, v2 offset:768
	s_and_b64 exec, exec, vcc
; %bb.12:
	ds_write_b32 v1, v2 offset:896
.LBB8_13:
	s_or_b64 exec, exec, s[6:7]
	s_waitcnt vmcnt(0)
	v_lshlrev_b32_e32 v1, 5, v12
	s_movk_i32 s4, 0xe0
	v_lshrrev_b32_e32 v2, 2, v12
	v_and_or_b32 v1, v1, s4, v0
	v_and_b32_e32 v2, 2, v2
	v_lshl_or_b32 v16, v1, 2, v2
	ds_read_u16 v15, v16
	v_lshrrev_b16_e32 v14, 8, v12
	v_mov_b32_e32 v2, 5
	v_mov_b32_e32 v3, 2
	v_mbcnt_lo_u32_b32 v13, -1, 0
	s_waitcnt lgkmcnt(0)
	v_add_u16_e32 v1, 1, v15
	ds_write_b16 v16, v1
	v_and_b32_e32 v1, 15, v14
	v_lshlrev_b32_sdwa v2, v2, v1 dst_sel:DWORD dst_unused:UNUSED_PAD src0_sel:DWORD src1_sel:WORD_0
	v_lshrrev_b32_sdwa v1, v3, v1 dst_sel:DWORD dst_unused:UNUSED_PAD src0_sel:DWORD src1_sel:WORD_0
	v_and_or_b32 v2, v2, s4, v0
	v_and_b32_e32 v1, 2, v1
	v_lshl_or_b32 v18, v2, 2, v1
	ds_read_u16 v17, v18
	v_mbcnt_hi_u32_b32 v13, -1, v13
	v_and_b32_e32 v19, 15, v13
	v_cmp_eq_u32_e64 s[4:5], 0, v19
	v_cmp_lt_u32_e64 s[6:7], 1, v19
	s_waitcnt lgkmcnt(0)
	v_add_u16_e32 v1, 1, v17
	ds_write_b16 v18, v1
	s_waitcnt lgkmcnt(0)
	; wave barrier
	ds_read2_b64 v[5:8], v11 offset1:1
	ds_read2_b64 v[1:4], v11 offset0:2 offset1:3
	v_cmp_lt_u32_e64 s[12:13], 3, v19
	v_cmp_lt_u32_e64 s[16:17], 7, v19
	v_and_b32_e32 v19, 16, v13
	s_waitcnt lgkmcnt(1)
	v_add_u32_e32 v20, v6, v5
	v_add3_u32 v20, v20, v7, v8
	s_waitcnt lgkmcnt(0)
	v_add3_u32 v20, v20, v1, v2
	v_add3_u32 v4, v20, v3, v4
	v_cmp_eq_u32_e64 s[14:15], 0, v19
	v_bfe_i32 v19, v13, 4, 1
	v_mov_b32_dpp v20, v4 row_shr:1 row_mask:0xf bank_mask:0xf
	v_cndmask_b32_e64 v20, v20, 0, s[4:5]
	v_add_u32_e32 v4, v20, v4
	v_cmp_eq_u32_e64 s[8:9], 31, v0
	s_nop 0
	v_mov_b32_dpp v20, v4 row_shr:2 row_mask:0xf bank_mask:0xf
	v_cndmask_b32_e64 v20, 0, v20, s[6:7]
	v_add_u32_e32 v4, v4, v20
	s_nop 1
	v_mov_b32_dpp v20, v4 row_shr:4 row_mask:0xf bank_mask:0xf
	v_cndmask_b32_e64 v20, 0, v20, s[12:13]
	v_add_u32_e32 v4, v4, v20
	;; [unrolled: 4-line block ×3, first 2 shown]
	s_nop 1
	v_mov_b32_dpp v20, v4 row_bcast:15 row_mask:0xf bank_mask:0xf
	v_and_b32_e32 v19, v19, v20
	v_add_u32_e32 v4, v4, v19
	s_and_saveexec_b64 s[10:11], s[8:9]
; %bb.14:
	v_mov_b32_e32 v19, 0
	ds_write_b32 v19, v4 offset:1024
; %bb.15:
	s_or_b64 exec, exec, s[10:11]
	v_subrev_co_u32_e64 v19, s[10:11], 1, v13
	v_and_b32_e32 v20, 0x60, v13
	v_cmp_lt_i32_e64 s[18:19], v19, v20
	v_cndmask_b32_e64 v13, v19, v13, s[18:19]
	v_lshlrev_b32_e32 v13, 2, v13
	ds_bpermute_b32 v4, v13, v4
	s_waitcnt lgkmcnt(0)
	; wave barrier
	v_cndmask_b32_e64 v19, v4, 0, s[10:11]
	v_mov_b32_e32 v4, 0
	ds_read_b32 v20, v4 offset:1024
	s_waitcnt lgkmcnt(0)
	v_lshl_add_u32 v19, v20, 16, v19
	v_add_u32_e32 v20, v19, v5
	v_add_u32_e32 v5, v20, v6
	v_add_u32_e32 v6, v5, v7
	v_add_u32_e32 v7, v6, v8
	v_add_u32_e32 v8, v7, v1
	v_add_u32_e32 v1, v8, v2
	v_add_u32_e32 v2, v1, v3
	ds_write2_b64 v11, v[19:20], v[5:6] offset1:1
	ds_write2_b64 v11, v[7:8], v[1:2] offset0:2 offset1:3
	s_waitcnt lgkmcnt(0)
	; wave barrier
	ds_read_u16 v1, v16
	ds_read_u16 v2, v18
	s_waitcnt lgkmcnt(0)
	; wave barrier
	v_add_u32_sdwa v1, v1, v15 dst_sel:DWORD dst_unused:UNUSED_PAD src0_sel:DWORD src1_sel:WORD_0
	ds_write_b8 v1, v12
	v_add_u32_sdwa v1, v2, v17 dst_sel:DWORD dst_unused:UNUSED_PAD src0_sel:DWORD src1_sel:WORD_0
	ds_write_b8 v1, v14
	s_waitcnt lgkmcnt(0)
	; wave barrier
	ds_read_u16 v14, v10
	v_lshlrev_b32_e32 v12, 2, v0
	s_waitcnt lgkmcnt(0)
	; wave barrier
	s_and_saveexec_b64 s[18:19], s[2:3]
	s_cbranch_execz .LBB8_24
; %bb.16:
	s_movk_i32 s2, 0xe0
	v_cmp_gt_u32_e64 s[2:3], s2, v0
	ds_write_b32 v12, v4
	s_and_b64 exec, exec, s[2:3]
	s_cbranch_execz .LBB8_24
; %bb.17:
	s_movk_i32 s2, 0xc0
	v_mov_b32_e32 v1, 0
	v_cmp_gt_u32_e64 s[2:3], s2, v0
	ds_write_b32 v12, v1 offset:128
	s_and_b64 exec, exec, s[2:3]
	s_cbranch_execz .LBB8_24
; %bb.18:
	s_movk_i32 s2, 0xa0
	v_cmp_gt_u32_e64 s[2:3], s2, v0
	ds_write_b32 v12, v1 offset:256
	s_and_b64 exec, exec, s[2:3]
	s_cbranch_execz .LBB8_24
; %bb.19:
	s_movk_i32 s2, 0x80
	v_mov_b32_e32 v1, 0
	v_cmp_gt_u32_e64 s[2:3], s2, v0
	ds_write_b32 v12, v1 offset:384
	s_and_b64 exec, exec, s[2:3]
	s_cbranch_execz .LBB8_24
; %bb.20:
	s_movk_i32 s2, 0x60
	v_cmp_gt_u32_e64 s[2:3], s2, v0
	ds_write_b32 v12, v1 offset:512
	s_and_b64 exec, exec, s[2:3]
	s_cbranch_execz .LBB8_24
; %bb.21:
	v_mov_b32_e32 v1, 0
	ds_write_b32 v12, v1 offset:640
	s_and_b64 exec, exec, s[0:1]
	s_cbranch_execz .LBB8_24
; %bb.22:
	ds_write_b32 v12, v1 offset:768
	s_and_b64 exec, exec, vcc
; %bb.23:
	v_mov_b32_e32 v1, 0
	ds_write_b32 v12, v1 offset:896
.LBB8_24:
	s_or_b64 exec, exec, s[18:19]
	v_lshrrev_b16_e32 v1, 4, v14
	v_and_b32_e32 v1, 15, v1
	v_mov_b32_e32 v2, 5
	v_mov_b32_e32 v3, 2
	v_lshlrev_b32_sdwa v2, v2, v1 dst_sel:DWORD dst_unused:UNUSED_PAD src0_sel:DWORD src1_sel:WORD_0
	s_movk_i32 s2, 0xe0
	v_lshrrev_b32_sdwa v1, v3, v1 dst_sel:DWORD dst_unused:UNUSED_PAD src0_sel:DWORD src1_sel:WORD_0
	v_and_or_b32 v2, v2, s2, v0
	v_and_b32_e32 v1, 2, v1
	v_lshl_or_b32 v16, v2, 2, v1
	ds_read_u16 v15, v16
	v_lshrrev_b16_e32 v19, 8, v14
	s_waitcnt lgkmcnt(0)
	v_add_u16_e32 v1, 1, v15
	ds_write_b16 v16, v1
	v_lshrrev_b16_e32 v1, 12, v14
	v_lshlrev_b32_e32 v2, 5, v1
	v_lshrrev_b32_e32 v1, 2, v1
	v_and_or_b32 v2, v2, s2, v0
	v_and_b32_e32 v1, 2, v1
	v_lshl_or_b32 v18, v2, 2, v1
	ds_read_u16 v17, v18
	s_waitcnt lgkmcnt(0)
	v_add_u16_e32 v1, 1, v17
	ds_write_b16 v18, v1
	s_waitcnt lgkmcnt(0)
	; wave barrier
	ds_read2_b64 v[5:8], v11 offset1:1
	ds_read2_b64 v[1:4], v11 offset0:2 offset1:3
	s_waitcnt lgkmcnt(1)
	v_add_u32_e32 v20, v6, v5
	v_add3_u32 v20, v20, v7, v8
	s_waitcnt lgkmcnt(0)
	v_add3_u32 v20, v20, v1, v2
	v_add3_u32 v4, v20, v3, v4
	s_nop 1
	v_mov_b32_dpp v20, v4 row_shr:1 row_mask:0xf bank_mask:0xf
	v_cndmask_b32_e64 v20, v20, 0, s[4:5]
	v_add_u32_e32 v4, v20, v4
	s_nop 1
	v_mov_b32_dpp v20, v4 row_shr:2 row_mask:0xf bank_mask:0xf
	v_cndmask_b32_e64 v20, 0, v20, s[6:7]
	v_add_u32_e32 v4, v4, v20
	;; [unrolled: 4-line block ×4, first 2 shown]
	s_nop 1
	v_mov_b32_dpp v20, v4 row_bcast:15 row_mask:0xf bank_mask:0xf
	v_cndmask_b32_e64 v20, v20, 0, s[14:15]
	v_add_u32_e32 v4, v4, v20
	s_and_saveexec_b64 s[2:3], s[8:9]
; %bb.25:
	v_mov_b32_e32 v20, 0
	ds_write_b32 v20, v4 offset:1024
; %bb.26:
	s_or_b64 exec, exec, s[2:3]
	ds_bpermute_b32 v4, v13, v4
	v_mov_b32_e32 v13, 0
	s_waitcnt lgkmcnt(0)
	; wave barrier
	ds_read_b32 v13, v13 offset:1024
	v_cndmask_b32_e64 v4, v4, 0, s[10:11]
	s_waitcnt lgkmcnt(0)
	v_lshl_add_u32 v4, v13, 16, v4
	v_add_u32_e32 v5, v4, v5
	v_add_u32_e32 v6, v5, v6
	;; [unrolled: 1-line block ×7, first 2 shown]
	ds_write2_b64 v11, v[4:5], v[6:7] offset1:1
	ds_write2_b64 v11, v[20:21], v[1:2] offset0:2 offset1:3
	s_waitcnt lgkmcnt(0)
	; wave barrier
	ds_read_u16 v1, v16
	ds_read_u16 v2, v18
	s_waitcnt lgkmcnt(0)
	; wave barrier
	v_add_u32_sdwa v1, v1, v15 dst_sel:DWORD dst_unused:UNUSED_PAD src0_sel:DWORD src1_sel:WORD_0
	ds_write_b8 v1, v14
	v_add_u32_sdwa v1, v2, v17 dst_sel:DWORD dst_unused:UNUSED_PAD src0_sel:DWORD src1_sel:WORD_0
	ds_write_b8 v1, v19
	s_waitcnt lgkmcnt(0)
	; wave barrier
	ds_read_u16 v1, v10
	s_waitcnt lgkmcnt(0)
	; wave barrier
	s_and_saveexec_b64 s[2:3], s[0:1]
	s_cbranch_execz .LBB8_29
; %bb.27:
	v_mov_b32_e32 v2, 64
	ds_write2_b32 v12, v2, v2 offset0:16 offset1:80
	s_and_b64 exec, exec, vcc
; %bb.28:
	ds_write2_b32 v12, v2, v2 offset0:48 offset1:112
.LBB8_29:
	s_or_b64 exec, exec, s[2:3]
	v_lshrrev_b16_e32 v2, 8, v1
	v_cmp_ne_u16_sdwa s[4:5], v1, v2 src0_sel:BYTE_0 src1_sel:DWORD
	s_waitcnt lgkmcnt(0)
	; wave barrier
	ds_write_b8 v0, v2
	s_and_saveexec_b64 s[2:3], s[4:5]
	s_cbranch_execz .LBB8_31
; %bb.30:
	v_mov_b32_e32 v3, 2
	v_lshlrev_b32_e32 v2, 2, v2
	v_or_b32_e32 v4, 1, v9
	v_lshlrev_b32_sdwa v3, v3, v1 dst_sel:DWORD dst_unused:UNUSED_PAD src0_sel:DWORD src1_sel:BYTE_0
	ds_write_b32 v2, v4 offset:64
	ds_write_b32 v3, v4 offset:320
.LBB8_31:
	s_or_b64 exec, exec, s[2:3]
	v_cmp_eq_u32_e64 s[2:3], 0, v0
	v_cmp_ne_u32_e64 s[4:5], 0, v0
	s_waitcnt lgkmcnt(0)
	; wave barrier
	s_and_saveexec_b64 s[6:7], s[4:5]
	s_cbranch_execz .LBB8_34
; %bb.32:
	v_add_u32_e32 v2, -1, v0
	ds_read_u8 v3, v2
	s_waitcnt lgkmcnt(0)
	v_cmp_ne_u16_sdwa s[4:5], v3, v1 src0_sel:DWORD src1_sel:BYTE_0
	s_and_b64 exec, exec, s[4:5]
	s_cbranch_execz .LBB8_34
; %bb.33:
	v_mov_b32_e32 v3, 2
	v_lshlrev_b32_sdwa v3, v3, v1 dst_sel:DWORD dst_unused:UNUSED_PAD src0_sel:DWORD src1_sel:BYTE_0
	ds_write_b32 v3, v9 offset:64
	ds_read_u8 v2, v2
	s_waitcnt lgkmcnt(0)
	v_lshlrev_b32_e32 v2, 2, v2
	ds_write_b32 v2, v9 offset:320
.LBB8_34:
	s_or_b64 exec, exec, s[6:7]
	s_waitcnt lgkmcnt(0)
	; wave barrier
	s_and_saveexec_b64 s[4:5], s[2:3]
; %bb.35:
	v_mov_b32_e32 v2, 2
	v_lshlrev_b32_sdwa v1, v2, v1 dst_sel:DWORD dst_unused:UNUSED_PAD src0_sel:DWORD src1_sel:BYTE_0
	v_mov_b32_e32 v2, 0
	ds_write_b32 v1, v2 offset:64
; %bb.36:
	s_or_b64 exec, exec, s[4:5]
	v_mad_u32_u24 v1, v0, 3, v0
	s_waitcnt lgkmcnt(0)
	; wave barrier
	s_and_saveexec_b64 s[2:3], s[0:1]
	s_cbranch_execz .LBB8_38
; %bb.37:
	ds_read2_b32 v[2:3], v1 offset0:16 offset1:80
	ds_read_u8 v4, v0 offset:1040
	s_waitcnt lgkmcnt(1)
	v_sub_u32_e32 v2, v3, v2
	s_waitcnt lgkmcnt(0)
	v_add_u16_e32 v2, v4, v2
	ds_write_b8 v0, v2 offset:1040
.LBB8_38:
	s_or_b64 exec, exec, s[2:3]
	s_and_saveexec_b64 s[2:3], vcc
	s_cbranch_execz .LBB8_40
; %bb.39:
	ds_read2_b32 v[1:2], v1 offset0:48 offset1:112
	ds_read_u8 v3, v0 offset:1072
	s_waitcnt lgkmcnt(1)
	v_sub_u32_e32 v1, v2, v1
	s_waitcnt lgkmcnt(0)
	v_add_u16_e32 v1, v3, v1
	ds_write_b8 v0, v1 offset:1072
.LBB8_40:
	s_or_b64 exec, exec, s[2:3]
	v_mov_b32_e32 v1, s24
	s_waitcnt lgkmcnt(0)
	; wave barrier
	s_and_saveexec_b64 s[2:3], s[0:1]
	s_cbranch_execnz .LBB8_43
; %bb.41:
	s_or_b64 exec, exec, s[2:3]
	s_and_saveexec_b64 s[0:1], vcc
	s_cbranch_execnz .LBB8_44
.LBB8_42:
	s_endpgm
.LBB8_43:
	ds_read_u8 v1, v0 offset:1040
	s_or_b32 s0, s24, 32
	v_or_b32_e32 v2, s24, v0
	s_waitcnt lgkmcnt(0)
	global_store_byte v2, v1, s[22:23]
	v_mov_b32_e32 v1, s0
	s_or_b64 exec, exec, s[2:3]
	s_and_saveexec_b64 s[0:1], vcc
	s_cbranch_execz .LBB8_42
.LBB8_44:
	ds_read_u8 v2, v0 offset:1072
	v_add_u32_e32 v0, v1, v0
	s_waitcnt lgkmcnt(0)
	global_store_byte v0, v2, s[22:23]
	s_endpgm
	.section	.rodata,"a",@progbits
	.p2align	6, 0x0
	.amdhsa_kernel _Z16histogram_kernelILj32ELj2ELj64ELN6hipcub23BlockHistogramAlgorithmE1EhEvPT3_S3_
		.amdhsa_group_segment_fixed_size 1104
		.amdhsa_private_segment_fixed_size 0
		.amdhsa_kernarg_size 16
		.amdhsa_user_sgpr_count 6
		.amdhsa_user_sgpr_private_segment_buffer 1
		.amdhsa_user_sgpr_dispatch_ptr 0
		.amdhsa_user_sgpr_queue_ptr 0
		.amdhsa_user_sgpr_kernarg_segment_ptr 1
		.amdhsa_user_sgpr_dispatch_id 0
		.amdhsa_user_sgpr_flat_scratch_init 0
		.amdhsa_user_sgpr_private_segment_size 0
		.amdhsa_uses_dynamic_stack 0
		.amdhsa_system_sgpr_private_segment_wavefront_offset 0
		.amdhsa_system_sgpr_workgroup_id_x 1
		.amdhsa_system_sgpr_workgroup_id_y 0
		.amdhsa_system_sgpr_workgroup_id_z 0
		.amdhsa_system_sgpr_workgroup_info 0
		.amdhsa_system_vgpr_workitem_id 0
		.amdhsa_next_free_vgpr 22
		.amdhsa_next_free_sgpr 25
		.amdhsa_reserve_vcc 1
		.amdhsa_reserve_flat_scratch 0
		.amdhsa_float_round_mode_32 0
		.amdhsa_float_round_mode_16_64 0
		.amdhsa_float_denorm_mode_32 3
		.amdhsa_float_denorm_mode_16_64 3
		.amdhsa_dx10_clamp 1
		.amdhsa_ieee_mode 1
		.amdhsa_fp16_overflow 0
		.amdhsa_exception_fp_ieee_invalid_op 0
		.amdhsa_exception_fp_denorm_src 0
		.amdhsa_exception_fp_ieee_div_zero 0
		.amdhsa_exception_fp_ieee_overflow 0
		.amdhsa_exception_fp_ieee_underflow 0
		.amdhsa_exception_fp_ieee_inexact 0
		.amdhsa_exception_int_div_zero 0
	.end_amdhsa_kernel
	.section	.text._Z16histogram_kernelILj32ELj2ELj64ELN6hipcub23BlockHistogramAlgorithmE1EhEvPT3_S3_,"axG",@progbits,_Z16histogram_kernelILj32ELj2ELj64ELN6hipcub23BlockHistogramAlgorithmE1EhEvPT3_S3_,comdat
.Lfunc_end8:
	.size	_Z16histogram_kernelILj32ELj2ELj64ELN6hipcub23BlockHistogramAlgorithmE1EhEvPT3_S3_, .Lfunc_end8-_Z16histogram_kernelILj32ELj2ELj64ELN6hipcub23BlockHistogramAlgorithmE1EhEvPT3_S3_
                                        ; -- End function
	.set _Z16histogram_kernelILj32ELj2ELj64ELN6hipcub23BlockHistogramAlgorithmE1EhEvPT3_S3_.num_vgpr, 22
	.set _Z16histogram_kernelILj32ELj2ELj64ELN6hipcub23BlockHistogramAlgorithmE1EhEvPT3_S3_.num_agpr, 0
	.set _Z16histogram_kernelILj32ELj2ELj64ELN6hipcub23BlockHistogramAlgorithmE1EhEvPT3_S3_.numbered_sgpr, 25
	.set _Z16histogram_kernelILj32ELj2ELj64ELN6hipcub23BlockHistogramAlgorithmE1EhEvPT3_S3_.num_named_barrier, 0
	.set _Z16histogram_kernelILj32ELj2ELj64ELN6hipcub23BlockHistogramAlgorithmE1EhEvPT3_S3_.private_seg_size, 0
	.set _Z16histogram_kernelILj32ELj2ELj64ELN6hipcub23BlockHistogramAlgorithmE1EhEvPT3_S3_.uses_vcc, 1
	.set _Z16histogram_kernelILj32ELj2ELj64ELN6hipcub23BlockHistogramAlgorithmE1EhEvPT3_S3_.uses_flat_scratch, 0
	.set _Z16histogram_kernelILj32ELj2ELj64ELN6hipcub23BlockHistogramAlgorithmE1EhEvPT3_S3_.has_dyn_sized_stack, 0
	.set _Z16histogram_kernelILj32ELj2ELj64ELN6hipcub23BlockHistogramAlgorithmE1EhEvPT3_S3_.has_recursion, 0
	.set _Z16histogram_kernelILj32ELj2ELj64ELN6hipcub23BlockHistogramAlgorithmE1EhEvPT3_S3_.has_indirect_call, 0
	.section	.AMDGPU.csdata,"",@progbits
; Kernel info:
; codeLenInByte = 2100
; TotalNumSgprs: 29
; NumVgprs: 22
; ScratchSize: 0
; MemoryBound: 0
; FloatMode: 240
; IeeeMode: 1
; LDSByteSize: 1104 bytes/workgroup (compile time only)
; SGPRBlocks: 3
; VGPRBlocks: 5
; NumSGPRsForWavesPerEU: 29
; NumVGPRsForWavesPerEU: 22
; Occupancy: 10
; WaveLimiterHint : 0
; COMPUTE_PGM_RSRC2:SCRATCH_EN: 0
; COMPUTE_PGM_RSRC2:USER_SGPR: 6
; COMPUTE_PGM_RSRC2:TRAP_HANDLER: 0
; COMPUTE_PGM_RSRC2:TGID_X_EN: 1
; COMPUTE_PGM_RSRC2:TGID_Y_EN: 0
; COMPUTE_PGM_RSRC2:TGID_Z_EN: 0
; COMPUTE_PGM_RSRC2:TIDIG_COMP_CNT: 0
	.section	.text._Z16histogram_kernelILj6ELj32ELj18ELN6hipcub23BlockHistogramAlgorithmE1EhEvPT3_S3_,"axG",@progbits,_Z16histogram_kernelILj6ELj32ELj18ELN6hipcub23BlockHistogramAlgorithmE1EhEvPT3_S3_,comdat
	.protected	_Z16histogram_kernelILj6ELj32ELj18ELN6hipcub23BlockHistogramAlgorithmE1EhEvPT3_S3_ ; -- Begin function _Z16histogram_kernelILj6ELj32ELj18ELN6hipcub23BlockHistogramAlgorithmE1EhEvPT3_S3_
	.globl	_Z16histogram_kernelILj6ELj32ELj18ELN6hipcub23BlockHistogramAlgorithmE1EhEvPT3_S3_
	.p2align	8
	.type	_Z16histogram_kernelILj6ELj32ELj18ELN6hipcub23BlockHistogramAlgorithmE1EhEvPT3_S3_,@function
_Z16histogram_kernelILj6ELj32ELj18ELN6hipcub23BlockHistogramAlgorithmE1EhEvPT3_S3_: ; @_Z16histogram_kernelILj6ELj32ELj18ELN6hipcub23BlockHistogramAlgorithmE1EhEvPT3_S3_
; %bb.0:
	s_load_dwordx4 s[28:31], s[4:5], 0x0
	s_mul_i32 s0, s6, 6
	v_add_lshl_u32 v9, s0, v0, 5
	v_cmp_gt_u32_e64 s[4:5], 18, v0
	s_waitcnt lgkmcnt(0)
	global_load_dwordx4 v[1:4], v9, s[28:29]
	global_load_dwordx4 v[5:8], v9, s[28:29] offset:16
	s_and_saveexec_b64 s[0:1], s[4:5]
	s_cbranch_execnz .LBB9_88
; %bb.1:
	s_or_b64 exec, exec, s[0:1]
	v_cmp_gt_u32_e64 s[2:3], 12, v0
	s_and_saveexec_b64 s[0:1], s[2:3]
	s_cbranch_execnz .LBB9_89
.LBB9_2:
	s_or_b64 exec, exec, s[0:1]
	v_cmp_gt_u32_e64 s[0:1], 6, v0
	s_and_saveexec_b64 s[8:9], s[0:1]
.LBB9_3:
	v_mov_b32_e32 v9, 0
	ds_write_b8 v0, v9 offset:220
.LBB9_4:
	s_or_b64 exec, exec, s[8:9]
	v_mbcnt_lo_u32_b32 v9, -1, 0
	v_mbcnt_hi_u32_b32 v9, -1, v9
	v_and_b32_e32 v10, 7, v9
	v_cmp_eq_u32_e64 s[8:9], 0, v10
	v_cmp_lt_u32_e64 s[10:11], 1, v10
	v_cmp_lt_u32_e64 s[12:13], 3, v10
	v_subrev_co_u32_e64 v10, s[16:17], 1, v9
	v_and_b32_e32 v11, 0x78, v9
	v_cmp_lt_i32_e32 vcc, v10, v11
	v_cndmask_b32_e32 v9, v10, v9, vcc
	s_mov_b32 s7, 0x5040100
	v_lshlrev_b32_e32 v24, 5, v0
	v_lshlrev_b32_e32 v25, 2, v9
	v_mul_i32_i24_e32 v9, 0xffffffe4, v0
	v_perm_b32 v26, v0, v0, s7
	v_cmp_gt_u32_e64 s[26:27], 48, v0
	s_mov_b32 s38, 0
	v_cmp_eq_u32_e64 s[14:15], 5, v0
	v_cmp_gt_u32_e64 s[18:19], 42, v0
	v_cmp_gt_u32_e64 s[20:21], 36, v0
	v_cmp_gt_u32_e64 s[22:23], 30, v0
	v_cmp_gt_u32_e64 s[24:25], 24, v0
	v_mov_b32_e32 v27, v26
	s_mov_b64 s[28:29], -1
	v_mov_b32_e32 v28, 0
	s_movk_i32 s33, 0xff
	s_movk_i32 s36, 0x7ffc
	s_mov_b32 s37, 0xfffc
	v_add_u32_e32 v29, v24, v9
	v_mov_b32_e32 v30, 7
	v_mov_b32_e32 v31, 1
	s_waitcnt lgkmcnt(0)
	; wave barrier
	s_branch .LBB9_6
.LBB9_5:                                ;   in Loop: Header=BB9_6 Depth=1
	s_mov_b32 s38, 4
	s_andn2_b64 vcc, exec, s[28:29]
	s_mov_b64 s[28:29], 0
	s_cbranch_vccz .LBB9_19
.LBB9_6:                                ; =>This Inner Loop Header: Depth=1
	s_waitcnt vmcnt(0)
	v_mov_b32_e32 v9, v7
	v_mov_b32_e32 v12, v6
	;; [unrolled: 1-line block ×8, first 2 shown]
	s_and_saveexec_b64 s[34:35], s[26:27]
	s_cbranch_execz .LBB9_15
; %bb.7:                                ;   in Loop: Header=BB9_6 Depth=1
	ds_write_b32 v29, v28
	s_and_b64 exec, exec, s[18:19]
	s_cbranch_execz .LBB9_15
; %bb.8:                                ;   in Loop: Header=BB9_6 Depth=1
	ds_write_b32 v29, v28 offset:24
	s_and_b64 exec, exec, s[20:21]
	s_cbranch_execz .LBB9_15
; %bb.9:                                ;   in Loop: Header=BB9_6 Depth=1
	ds_write_b32 v29, v28 offset:48
	s_and_b64 exec, exec, s[22:23]
	s_cbranch_execz .LBB9_15
; %bb.10:                               ;   in Loop: Header=BB9_6 Depth=1
	ds_write_b32 v29, v28 offset:72
	s_and_b64 exec, exec, s[24:25]
	s_cbranch_execz .LBB9_15
; %bb.11:                               ;   in Loop: Header=BB9_6 Depth=1
	;; [unrolled: 4-line block ×4, first 2 shown]
	ds_write_b32 v29, v28 offset:144
	s_and_b64 exec, exec, s[0:1]
; %bb.14:                               ;   in Loop: Header=BB9_6 Depth=1
	ds_write_b32 v29, v28 offset:168
.LBB9_15:                               ;   in Loop: Header=BB9_6 Depth=1
	s_or_b64 exec, exec, s[34:35]
	v_lshrrev_b16_e32 v1, 8, v15
	v_and_b32_e32 v3, 0xff, v15
	v_perm_b32 v1, v1, v3, s7
	v_pk_lshrrev_b16 v1, s38, v1 op_sel_hi:[0,1]
	v_and_b32_e32 v4, 7, v1
	v_and_b32_sdwa v5, v1, v30 dst_sel:DWORD dst_unused:UNUSED_PAD src0_sel:WORD_1 src1_sel:DWORD
	v_lshrrev_b16_e32 v3, 3, v1
	v_perm_b32 v4, v5, v4, s7
	v_and_b32_e32 v3, 1, v3
	v_pk_mad_u16 v4, v4, 6, v26 op_sel_hi:[1,0,1]
	v_pk_lshlrev_b16 v4, 2, v4 op_sel_hi:[0,1]
	v_lshlrev_b32_sdwa v3, v31, v3 dst_sel:DWORD dst_unused:UNUSED_PAD src0_sel:DWORD src1_sel:WORD_0
	v_and_or_b32 v48, v4, s36, v3
	ds_read_u16 v32, v48
	v_lshrrev_b32_e32 v1, 19, v1
	v_and_b32_e32 v1, 1, v1
	v_and_b32_e32 v1, 0xffff, v1
	v_lshrrev_b32_e32 v4, 16, v4
	s_waitcnt lgkmcnt(0)
	v_add_u16_e32 v5, 1, v32
	ds_write_b16 v48, v5
	v_lshl_or_b32 v50, v1, 1, v4
	ds_read_u16 v33, v50
	v_lshrrev_b32_e32 v2, 24, v15
	v_and_b32_sdwa v3, v15, s33 dst_sel:DWORD dst_unused:UNUSED_PAD src0_sel:WORD_1 src1_sel:DWORD
	v_perm_b32 v2, v2, v3, s7
	v_pk_lshrrev_b16 v2, s38, v2 op_sel_hi:[0,1]
	v_and_b32_e32 v3, 7, v2
	v_and_b32_sdwa v1, v2, v30 dst_sel:DWORD dst_unused:UNUSED_PAD src0_sel:WORD_1 src1_sel:DWORD
	v_perm_b32 v1, v1, v3, s7
	s_waitcnt lgkmcnt(0)
	v_add_u16_e32 v3, 1, v33
	ds_write_b16 v50, v3
	v_lshrrev_b16_e32 v3, 3, v2
	v_pk_mad_u16 v1, v1, 6, v27 op_sel_hi:[1,0,1]
	v_and_b32_e32 v3, 1, v3
	v_pk_lshlrev_b16 v1, 2, v1 op_sel_hi:[0,1]
	v_lshlrev_b32_sdwa v3, v31, v3 dst_sel:DWORD dst_unused:UNUSED_PAD src0_sel:DWORD src1_sel:WORD_0
	v_and_or_b32 v52, v1, s36, v3
	ds_read_u16 v34, v52
	v_lshrrev_b32_e32 v2, 19, v2
	v_and_b32_e32 v2, 1, v2
	v_and_b32_e32 v2, 0xffff, v2
	v_lshrrev_b32_e32 v1, 16, v1
	s_waitcnt lgkmcnt(0)
	v_add_u16_e32 v3, 1, v34
	ds_write_b16 v52, v3
	v_lshl_or_b32 v53, v2, 1, v1
	ds_read_u16 v35, v53
	v_and_b32_e32 v2, 0xff, v16
	v_lshrrev_b32_e32 v36, 24, v16
	v_lshrrev_b32_e32 v45, 24, v14
	;; [unrolled: 1-line block ×3, first 2 shown]
	s_waitcnt lgkmcnt(0)
	v_add_u16_e32 v1, 1, v35
	ds_write_b16 v53, v1
	v_lshrrev_b16_e32 v1, 8, v16
	v_perm_b32 v1, v1, v2, s7
	v_pk_lshrrev_b16 v1, s38, v1 op_sel_hi:[0,1]
	v_and_b32_e32 v2, 7, v1
	v_and_b32_sdwa v3, v1, v30 dst_sel:DWORD dst_unused:UNUSED_PAD src0_sel:WORD_1 src1_sel:DWORD
	v_perm_b32 v2, v3, v2, s7
	v_lshrrev_b16_e32 v3, 3, v1
	v_and_b32_e32 v3, 1, v3
	v_pk_mad_u16 v2, v2, 6, v26 op_sel_hi:[1,0,1]
	v_pk_lshlrev_b16 v2, 2, v2 op_sel_hi:[0,1]
	v_lshlrev_b32_sdwa v3, v31, v3 dst_sel:DWORD dst_unused:UNUSED_PAD src0_sel:DWORD src1_sel:WORD_0
	v_and_or_b32 v56, v2, s36, v3
	ds_read_u16 v37, v56
	v_lshrrev_b32_e32 v1, 19, v1
	v_and_b32_e32 v1, 1, v1
	v_and_b32_e32 v1, 0xffff, v1
	v_lshrrev_b32_e32 v2, 16, v2
	s_waitcnt lgkmcnt(0)
	v_add_u16_e32 v4, 1, v37
	ds_write_b16 v56, v4
	v_lshl_or_b32 v58, v1, 1, v2
	ds_read_u16 v38, v58
	v_and_b32_sdwa v3, v16, s33 dst_sel:DWORD dst_unused:UNUSED_PAD src0_sel:WORD_1 src1_sel:DWORD
	v_perm_b32 v3, v36, v3, s7
	v_pk_lshrrev_b16 v1, s38, v3 op_sel_hi:[0,1]
	v_and_b32_e32 v2, 7, v1
	v_and_b32_sdwa v3, v1, v30 dst_sel:DWORD dst_unused:UNUSED_PAD src0_sel:WORD_1 src1_sel:DWORD
	v_perm_b32 v2, v3, v2, s7
	s_waitcnt lgkmcnt(0)
	v_add_u16_e32 v3, 1, v38
	ds_write_b16 v58, v3
	v_lshrrev_b16_e32 v3, 3, v1
	v_pk_mad_u16 v2, v2, 6, v27 op_sel_hi:[1,0,1]
	v_and_b32_e32 v3, 1, v3
	v_pk_lshlrev_b16 v2, 2, v2 op_sel_hi:[0,1]
	v_lshlrev_b32_sdwa v3, v31, v3 dst_sel:DWORD dst_unused:UNUSED_PAD src0_sel:DWORD src1_sel:WORD_0
	v_and_or_b32 v59, v2, s36, v3
	ds_read_u16 v39, v59
	v_lshrrev_b32_e32 v1, 19, v1
	v_and_b32_e32 v1, 1, v1
	v_and_b32_e32 v1, 0xffff, v1
	v_lshrrev_b32_e32 v2, 16, v2
	s_waitcnt lgkmcnt(0)
	v_add_u16_e32 v3, 1, v39
	ds_write_b16 v59, v3
	v_lshl_or_b32 v60, v1, 1, v2
	ds_read_u16 v40, v60
	v_and_b32_e32 v2, 0xff, v13
	v_and_b32_sdwa v4, v13, s33 dst_sel:DWORD dst_unused:UNUSED_PAD src0_sel:WORD_1 src1_sel:DWORD
	v_lshrrev_b32_e32 v70, 24, v10
	v_lshrrev_b32_e32 v76, 16, v10
	s_waitcnt lgkmcnt(0)
	v_add_u16_e32 v1, 1, v40
	ds_write_b16 v60, v1
	v_lshrrev_b16_e32 v1, 8, v13
	v_perm_b32 v1, v1, v2, s7
	v_pk_lshrrev_b16 v1, s38, v1 op_sel_hi:[0,1]
	v_and_b32_e32 v2, 7, v1
	v_and_b32_sdwa v3, v1, v30 dst_sel:DWORD dst_unused:UNUSED_PAD src0_sel:WORD_1 src1_sel:DWORD
	v_perm_b32 v2, v3, v2, s7
	v_lshrrev_b16_e32 v3, 3, v1
	v_and_b32_e32 v3, 1, v3
	v_pk_mad_u16 v2, v2, 6, v26 op_sel_hi:[1,0,1]
	v_pk_lshlrev_b16 v2, 2, v2 op_sel_hi:[0,1]
	v_lshlrev_b32_sdwa v3, v31, v3 dst_sel:DWORD dst_unused:UNUSED_PAD src0_sel:DWORD src1_sel:WORD_0
	v_and_or_b32 v62, v2, s36, v3
	ds_read_u16 v41, v62
	v_lshrrev_b32_e32 v1, 19, v1
	v_lshrrev_b32_e32 v3, 24, v13
	v_and_b32_e32 v1, 1, v1
	v_perm_b32 v3, v3, v4, s7
	s_waitcnt lgkmcnt(0)
	v_add_u16_e32 v4, 1, v41
	v_and_b32_e32 v1, 0xffff, v1
	v_lshrrev_b32_e32 v2, 16, v2
	ds_write_b16 v62, v4
	v_lshl_or_b32 v63, v1, 1, v2
	ds_read_u16 v42, v63
	v_pk_lshrrev_b16 v1, s38, v3 op_sel_hi:[0,1]
	v_and_b32_e32 v2, 7, v1
	v_and_b32_sdwa v3, v1, v30 dst_sel:DWORD dst_unused:UNUSED_PAD src0_sel:WORD_1 src1_sel:DWORD
	v_perm_b32 v2, v3, v2, s7
	s_waitcnt lgkmcnt(0)
	v_add_u16_e32 v3, 1, v42
	ds_write_b16 v63, v3
	v_lshrrev_b16_e32 v3, 3, v1
	v_pk_mad_u16 v2, v2, 6, v27 op_sel_hi:[1,0,1]
	v_and_b32_e32 v3, 1, v3
	v_pk_lshlrev_b16 v2, 2, v2 op_sel_hi:[0,1]
	v_lshlrev_b32_sdwa v3, v31, v3 dst_sel:DWORD dst_unused:UNUSED_PAD src0_sel:DWORD src1_sel:WORD_0
	v_and_or_b32 v64, v2, s36, v3
	ds_read_u16 v43, v64
	v_lshrrev_b32_e32 v1, 19, v1
	v_and_b32_e32 v1, 1, v1
	v_and_b32_e32 v1, 0xffff, v1
	v_lshrrev_b32_e32 v2, 16, v2
	s_waitcnt lgkmcnt(0)
	v_add_u16_e32 v3, 1, v43
	ds_write_b16 v64, v3
	v_lshl_or_b32 v65, v1, 1, v2
	ds_read_u16 v44, v65
	v_and_b32_e32 v2, 0xff, v14
	v_lshrrev_b32_e32 v88, 16, v15
	v_lshrrev_b32_e32 v86, 16, v16
	;; [unrolled: 1-line block ×3, first 2 shown]
	s_waitcnt lgkmcnt(0)
	v_add_u16_e32 v1, 1, v44
	ds_write_b16 v65, v1
	v_lshrrev_b16_e32 v1, 8, v14
	v_perm_b32 v1, v1, v2, s7
	v_pk_lshrrev_b16 v1, s38, v1 op_sel_hi:[0,1]
	v_and_b32_e32 v2, 7, v1
	v_and_b32_sdwa v3, v1, v30 dst_sel:DWORD dst_unused:UNUSED_PAD src0_sel:WORD_1 src1_sel:DWORD
	v_perm_b32 v2, v3, v2, s7
	v_lshrrev_b16_e32 v3, 3, v1
	v_and_b32_e32 v3, 1, v3
	v_pk_mad_u16 v2, v2, 6, v26 op_sel_hi:[1,0,1]
	v_pk_lshlrev_b16 v2, 2, v2 op_sel_hi:[0,1]
	v_lshlrev_b32_sdwa v3, v31, v3 dst_sel:DWORD dst_unused:UNUSED_PAD src0_sel:DWORD src1_sel:WORD_0
	v_and_or_b32 v66, v2, s36, v3
	ds_read_u16 v46, v66
	v_lshrrev_b32_e32 v1, 19, v1
	v_and_b32_e32 v1, 1, v1
	v_and_b32_e32 v1, 0xffff, v1
	v_lshrrev_b32_e32 v2, 16, v2
	s_waitcnt lgkmcnt(0)
	v_add_u16_e32 v4, 1, v46
	ds_write_b16 v66, v4
	v_lshl_or_b32 v67, v1, 1, v2
	ds_read_u16 v47, v67
	v_and_b32_sdwa v3, v14, s33 dst_sel:DWORD dst_unused:UNUSED_PAD src0_sel:WORD_1 src1_sel:DWORD
	v_perm_b32 v3, v45, v3, s7
	v_pk_lshrrev_b16 v1, s38, v3 op_sel_hi:[0,1]
	v_and_b32_e32 v2, 7, v1
	v_and_b32_sdwa v3, v1, v30 dst_sel:DWORD dst_unused:UNUSED_PAD src0_sel:WORD_1 src1_sel:DWORD
	v_perm_b32 v2, v3, v2, s7
	s_waitcnt lgkmcnt(0)
	v_add_u16_e32 v3, 1, v47
	ds_write_b16 v67, v3
	v_lshrrev_b16_e32 v3, 3, v1
	v_pk_mad_u16 v2, v2, 6, v27 op_sel_hi:[1,0,1]
	v_and_b32_e32 v3, 1, v3
	v_pk_lshlrev_b16 v2, 2, v2 op_sel_hi:[0,1]
	v_lshlrev_b32_sdwa v3, v31, v3 dst_sel:DWORD dst_unused:UNUSED_PAD src0_sel:DWORD src1_sel:WORD_0
	v_and_or_b32 v68, v2, s36, v3
	ds_read_u16 v49, v68
	v_lshrrev_b32_e32 v1, 19, v1
	v_and_b32_e32 v1, 1, v1
	v_and_b32_e32 v1, 0xffff, v1
	v_lshrrev_b32_e32 v2, 16, v2
	s_waitcnt lgkmcnt(0)
	v_add_u16_e32 v3, 1, v49
	ds_write_b16 v68, v3
	v_lshl_or_b32 v69, v1, 1, v2
	ds_read_u16 v51, v69
	v_and_b32_e32 v2, 0xff, v11
	v_and_b32_sdwa v4, v11, s33 dst_sel:DWORD dst_unused:UNUSED_PAD src0_sel:WORD_1 src1_sel:DWORD
	v_lshrrev_b32_e32 v81, 16, v14
	v_lshrrev_b32_e32 v79, 16, v11
	s_waitcnt lgkmcnt(0)
	v_add_u16_e32 v1, 1, v51
	ds_write_b16 v69, v1
	v_lshrrev_b16_e32 v1, 8, v11
	v_perm_b32 v1, v1, v2, s7
	v_pk_lshrrev_b16 v1, s38, v1 op_sel_hi:[0,1]
	v_and_b32_e32 v2, 7, v1
	v_and_b32_sdwa v3, v1, v30 dst_sel:DWORD dst_unused:UNUSED_PAD src0_sel:WORD_1 src1_sel:DWORD
	v_perm_b32 v2, v3, v2, s7
	v_lshrrev_b16_e32 v3, 3, v1
	v_and_b32_e32 v3, 1, v3
	v_pk_mad_u16 v2, v2, 6, v26 op_sel_hi:[1,0,1]
	v_pk_lshlrev_b16 v2, 2, v2 op_sel_hi:[0,1]
	v_lshlrev_b32_sdwa v3, v31, v3 dst_sel:DWORD dst_unused:UNUSED_PAD src0_sel:DWORD src1_sel:WORD_0
	v_and_or_b32 v71, v2, s36, v3
	ds_read_u16 v54, v71
	v_lshrrev_b32_e32 v1, 19, v1
	v_lshrrev_b32_e32 v3, 24, v11
	v_and_b32_e32 v1, 1, v1
	v_perm_b32 v3, v3, v4, s7
	s_waitcnt lgkmcnt(0)
	v_add_u16_e32 v4, 1, v54
	v_and_b32_e32 v1, 0xffff, v1
	v_lshrrev_b32_e32 v2, 16, v2
	ds_write_b16 v71, v4
	v_lshl_or_b32 v72, v1, 1, v2
	ds_read_u16 v55, v72
	v_pk_lshrrev_b16 v1, s38, v3 op_sel_hi:[0,1]
	v_and_b32_e32 v2, 7, v1
	v_and_b32_sdwa v3, v1, v30 dst_sel:DWORD dst_unused:UNUSED_PAD src0_sel:WORD_1 src1_sel:DWORD
	v_perm_b32 v2, v3, v2, s7
	s_waitcnt lgkmcnt(0)
	v_add_u16_e32 v3, 1, v55
	ds_write_b16 v72, v3
	v_lshrrev_b16_e32 v3, 3, v1
	v_pk_mad_u16 v2, v2, 6, v27 op_sel_hi:[1,0,1]
	v_and_b32_e32 v3, 1, v3
	v_pk_lshlrev_b16 v2, 2, v2 op_sel_hi:[0,1]
	v_lshlrev_b32_sdwa v3, v31, v3 dst_sel:DWORD dst_unused:UNUSED_PAD src0_sel:DWORD src1_sel:WORD_0
	v_and_or_b32 v74, v2, s36, v3
	ds_read_u16 v57, v74
	v_lshrrev_b32_e32 v1, 19, v1
	v_and_b32_e32 v1, 1, v1
	v_and_b32_e32 v1, 0xffff, v1
	v_lshrrev_b32_e32 v2, 16, v2
	s_waitcnt lgkmcnt(0)
	v_add_u16_e32 v3, 1, v57
	ds_write_b16 v74, v3
	v_lshl_or_b32 v75, v1, 1, v2
	ds_read_u16 v73, v75
	v_and_b32_e32 v2, 0xff, v12
	v_lshrrev_b32_e32 v78, 16, v12
	v_lshrrev_b32_e32 v77, 16, v9
	s_waitcnt lgkmcnt(0)
	v_add_u16_e32 v1, 1, v73
	ds_write_b16 v75, v1
	v_lshrrev_b16_e32 v1, 8, v12
	v_perm_b32 v1, v1, v2, s7
	v_pk_lshrrev_b16 v1, s38, v1 op_sel_hi:[0,1]
	v_and_b32_e32 v2, 7, v1
	v_and_b32_sdwa v3, v1, v30 dst_sel:DWORD dst_unused:UNUSED_PAD src0_sel:WORD_1 src1_sel:DWORD
	v_perm_b32 v2, v3, v2, s7
	v_lshrrev_b16_e32 v3, 3, v1
	v_and_b32_e32 v3, 1, v3
	v_pk_mad_u16 v2, v2, 6, v26 op_sel_hi:[1,0,1]
	v_pk_lshlrev_b16 v2, 2, v2 op_sel_hi:[0,1]
	v_lshlrev_b32_sdwa v3, v31, v3 dst_sel:DWORD dst_unused:UNUSED_PAD src0_sel:DWORD src1_sel:WORD_0
	v_and_or_b32 v82, v2, s36, v3
	ds_read_u16 v80, v82
	v_lshrrev_b32_e32 v1, 19, v1
	v_and_b32_e32 v1, 1, v1
	v_and_b32_e32 v1, 0xffff, v1
	v_lshrrev_b32_e32 v2, 16, v2
	s_waitcnt lgkmcnt(0)
	v_add_u16_e32 v4, 1, v80
	ds_write_b16 v82, v4
	v_lshl_or_b32 v85, v1, 1, v2
	ds_read_u16 v83, v85
	v_and_b32_sdwa v3, v12, s33 dst_sel:DWORD dst_unused:UNUSED_PAD src0_sel:WORD_1 src1_sel:DWORD
	v_perm_b32 v3, v61, v3, s7
	v_pk_lshrrev_b16 v1, s38, v3 op_sel_hi:[0,1]
	v_and_b32_e32 v2, 7, v1
	v_and_b32_sdwa v3, v1, v30 dst_sel:DWORD dst_unused:UNUSED_PAD src0_sel:WORD_1 src1_sel:DWORD
	v_perm_b32 v2, v3, v2, s7
	s_waitcnt lgkmcnt(0)
	v_add_u16_e32 v3, 1, v83
	ds_write_b16 v85, v3
	v_lshrrev_b16_e32 v3, 3, v1
	v_pk_mad_u16 v2, v2, 6, v27 op_sel_hi:[1,0,1]
	v_and_b32_e32 v3, 1, v3
	v_pk_lshlrev_b16 v2, 2, v2 op_sel_hi:[0,1]
	v_lshlrev_b32_sdwa v3, v31, v3 dst_sel:DWORD dst_unused:UNUSED_PAD src0_sel:DWORD src1_sel:WORD_0
	v_and_or_b32 v89, v2, s36, v3
	ds_read_u16 v87, v89
	v_lshrrev_b32_e32 v1, 19, v1
	v_and_b32_e32 v1, 1, v1
	v_and_b32_e32 v1, 0xffff, v1
	v_lshrrev_b32_e32 v2, 16, v2
	s_waitcnt lgkmcnt(0)
	v_add_u16_e32 v3, 1, v87
	ds_write_b16 v89, v3
	v_lshl_or_b32 v92, v1, 1, v2
	ds_read_u16 v90, v92
	v_and_b32_e32 v2, 0xff, v9
	v_and_b32_sdwa v4, v9, s33 dst_sel:DWORD dst_unused:UNUSED_PAD src0_sel:WORD_1 src1_sel:DWORD
	s_waitcnt lgkmcnt(0)
	v_add_u16_e32 v1, 1, v90
	ds_write_b16 v92, v1
	v_lshrrev_b16_e32 v1, 8, v9
	v_perm_b32 v1, v1, v2, s7
	v_pk_lshrrev_b16 v1, s38, v1 op_sel_hi:[0,1]
	v_and_b32_e32 v2, 7, v1
	v_and_b32_sdwa v3, v1, v30 dst_sel:DWORD dst_unused:UNUSED_PAD src0_sel:WORD_1 src1_sel:DWORD
	v_perm_b32 v2, v3, v2, s7
	v_lshrrev_b16_e32 v3, 3, v1
	v_and_b32_e32 v3, 1, v3
	v_pk_mad_u16 v2, v2, 6, v26 op_sel_hi:[1,0,1]
	v_pk_lshlrev_b16 v2, 2, v2 op_sel_hi:[0,1]
	v_lshlrev_b32_sdwa v3, v31, v3 dst_sel:DWORD dst_unused:UNUSED_PAD src0_sel:DWORD src1_sel:WORD_0
	v_and_or_b32 v99, v2, s37, v3
	ds_read_u16 v95, v99
	v_lshrrev_b32_e32 v1, 19, v1
	v_lshrrev_b32_e32 v3, 24, v9
	v_and_b32_e32 v1, 1, v1
	v_perm_b32 v3, v3, v4, s7
	s_waitcnt lgkmcnt(0)
	v_add_u16_e32 v4, 1, v95
	v_and_b32_e32 v1, 0xffff, v1
	v_lshrrev_b32_e32 v2, 16, v2
	ds_write_b16 v99, v4
	v_lshl_or_b32 v101, v1, 1, v2
	ds_read_u16 v98, v101
	v_pk_lshrrev_b16 v1, s38, v3 op_sel_hi:[0,1]
	v_and_b32_e32 v2, 7, v1
	v_and_b32_sdwa v3, v1, v30 dst_sel:DWORD dst_unused:UNUSED_PAD src0_sel:WORD_1 src1_sel:DWORD
	v_perm_b32 v2, v3, v2, s7
	s_waitcnt lgkmcnt(0)
	v_add_u16_e32 v3, 1, v98
	ds_write_b16 v101, v3
	v_lshrrev_b16_e32 v3, 3, v1
	v_pk_mad_u16 v2, v2, 6, v27 op_sel_hi:[1,0,1]
	v_and_b32_e32 v3, 1, v3
	v_pk_lshlrev_b16 v2, 2, v2 op_sel_hi:[0,1]
	v_lshlrev_b32_sdwa v3, v31, v3 dst_sel:DWORD dst_unused:UNUSED_PAD src0_sel:DWORD src1_sel:WORD_0
	v_and_or_b32 v103, v2, s37, v3
	ds_read_u16 v100, v103
	v_lshrrev_b32_e32 v1, 19, v1
	v_and_b32_e32 v1, 1, v1
	v_and_b32_e32 v1, 0xffff, v1
	v_lshrrev_b32_e32 v2, 16, v2
	s_waitcnt lgkmcnt(0)
	v_add_u16_e32 v3, 1, v100
	ds_write_b16 v103, v3
	v_lshl_or_b32 v104, v1, 1, v2
	ds_read_u16 v102, v104
	v_and_b32_e32 v2, 0xff, v10
	s_waitcnt lgkmcnt(0)
	v_add_u16_e32 v1, 1, v102
	ds_write_b16 v104, v1
	v_lshrrev_b16_e32 v1, 8, v10
	v_perm_b32 v1, v1, v2, s7
	v_pk_lshrrev_b16 v1, s38, v1 op_sel_hi:[0,1]
	v_and_b32_e32 v2, 7, v1
	v_and_b32_sdwa v3, v1, v30 dst_sel:DWORD dst_unused:UNUSED_PAD src0_sel:WORD_1 src1_sel:DWORD
	v_perm_b32 v2, v3, v2, s7
	v_lshrrev_b16_e32 v3, 3, v1
	v_and_b32_e32 v3, 1, v3
	v_pk_mad_u16 v2, v2, 6, v26 op_sel_hi:[1,0,1]
	v_pk_lshlrev_b16 v2, 2, v2 op_sel_hi:[0,1]
	v_lshlrev_b32_sdwa v3, v31, v3 dst_sel:DWORD dst_unused:UNUSED_PAD src0_sel:DWORD src1_sel:WORD_0
	v_and_or_b32 v117, v2, s36, v3
	ds_read_u16 v116, v117
	v_lshrrev_b32_e32 v1, 19, v1
	v_and_b32_e32 v1, 1, v1
	v_and_b32_e32 v1, 0xffff, v1
	v_lshrrev_b32_e32 v2, 16, v2
	s_waitcnt lgkmcnt(0)
	v_add_u16_e32 v4, 1, v116
	ds_write_b16 v117, v4
	v_lshl_or_b32 v119, v1, 1, v2
	ds_read_u16 v118, v119
	v_and_b32_sdwa v3, v10, s33 dst_sel:DWORD dst_unused:UNUSED_PAD src0_sel:WORD_1 src1_sel:DWORD
	v_perm_b32 v3, v70, v3, s7
	v_pk_lshrrev_b16 v1, s38, v3 op_sel_hi:[0,1]
	v_and_b32_e32 v2, 7, v1
	v_and_b32_sdwa v3, v1, v30 dst_sel:DWORD dst_unused:UNUSED_PAD src0_sel:WORD_1 src1_sel:DWORD
	v_perm_b32 v2, v3, v2, s7
	s_waitcnt lgkmcnt(0)
	v_add_u16_e32 v3, 1, v118
	ds_write_b16 v119, v3
	v_lshrrev_b16_e32 v3, 3, v1
	v_pk_mad_u16 v2, v2, 6, v27 op_sel_hi:[1,0,1]
	v_and_b32_e32 v3, 1, v3
	v_pk_lshlrev_b16 v2, 2, v2 op_sel_hi:[0,1]
	v_lshlrev_b32_sdwa v3, v31, v3 dst_sel:DWORD dst_unused:UNUSED_PAD src0_sel:DWORD src1_sel:WORD_0
	v_and_or_b32 v122, v2, s36, v3
	ds_read_u16 v120, v122
	v_lshrrev_b32_e32 v1, 19, v1
	v_and_b32_e32 v1, 1, v1
	v_and_b32_e32 v1, 0xffff, v1
	v_lshrrev_b32_e32 v2, 16, v2
	s_waitcnt lgkmcnt(0)
	v_add_u16_e32 v3, 1, v120
	ds_write_b16 v122, v3
	v_lshl_or_b32 v123, v1, 1, v2
	ds_read_u16 v121, v123
	s_waitcnt lgkmcnt(0)
	v_add_u16_e32 v1, 1, v121
	ds_write_b16 v123, v1
	s_waitcnt lgkmcnt(0)
	; wave barrier
	ds_read2_b64 v[1:4], v24 offset1:1
	ds_read2_b64 v[5:8], v24 offset0:2 offset1:3
	s_waitcnt lgkmcnt(1)
	v_add_u32_e32 v17, v2, v1
	v_add3_u32 v17, v17, v3, v4
	s_waitcnt lgkmcnt(0)
	v_add3_u32 v17, v17, v5, v6
	v_add3_u32 v8, v17, v7, v8
	s_nop 1
	v_mov_b32_dpp v17, v8 row_shr:1 row_mask:0xf bank_mask:0xf
	v_cndmask_b32_e64 v17, v17, 0, s[8:9]
	v_add_u32_e32 v8, v17, v8
	s_nop 1
	v_mov_b32_dpp v17, v8 row_shr:2 row_mask:0xf bank_mask:0xf
	v_cndmask_b32_e64 v17, 0, v17, s[10:11]
	v_add_u32_e32 v8, v8, v17
	;; [unrolled: 4-line block ×3, first 2 shown]
	s_and_saveexec_b64 s[34:35], s[14:15]
; %bb.16:                               ;   in Loop: Header=BB9_6 Depth=1
	ds_write_b32 v28, v8 offset:192
; %bb.17:                               ;   in Loop: Header=BB9_6 Depth=1
	s_or_b64 exec, exec, s[34:35]
	ds_bpermute_b32 v8, v25, v8
	s_waitcnt lgkmcnt(0)
	; wave barrier
	ds_read_b32 v105, v28 offset:192
	v_lshrrev_b64 v[17:18], 24, v[11:12]
	v_cndmask_b32_e64 v8, v8, 0, s[16:17]
	v_lshrrev_b64 v[22:23], 24, v[15:16]
	v_lshrrev_b64 v[20:21], 24, v[13:14]
	s_waitcnt lgkmcnt(0)
	v_lshl_add_u32 v105, v105, 16, v8
	v_add_u32_e32 v106, v105, v1
	v_add_u32_e32 v1, v106, v2
	;; [unrolled: 1-line block ×7, first 2 shown]
	ds_write2_b64 v24, v[105:106], v[1:2] offset1:1
	ds_write2_b64 v24, v[3:4], v[5:6] offset0:2 offset1:3
	s_waitcnt lgkmcnt(0)
	; wave barrier
	ds_read_u16 v115, v48
	ds_read_u16 v114, v50
	;; [unrolled: 1-line block ×24, first 2 shown]
	s_waitcnt lgkmcnt(4)
	v_add_u32_sdwa v62, v1, v73 dst_sel:DWORD dst_unused:UNUSED_PAD src0_sel:DWORD src1_sel:WORD_0
	s_waitcnt lgkmcnt(3)
	v_add_u32_sdwa v63, v2, v80 dst_sel:DWORD dst_unused:UNUSED_PAD src0_sel:DWORD src1_sel:WORD_0
	s_waitcnt lgkmcnt(2)
	v_add_u32_sdwa v64, v3, v83 dst_sel:DWORD dst_unused:UNUSED_PAD src0_sel:DWORD src1_sel:WORD_0
	s_waitcnt lgkmcnt(1)
	v_add_u32_sdwa v65, v4, v87 dst_sel:DWORD dst_unused:UNUSED_PAD src0_sel:DWORD src1_sel:WORD_0
	s_waitcnt lgkmcnt(0)
	v_add_u32_sdwa v66, v5, v90 dst_sel:DWORD dst_unused:UNUSED_PAD src0_sel:DWORD src1_sel:WORD_0
	ds_read_u16 v1, v99
	ds_read_u16 v2, v101
	;; [unrolled: 1-line block ×8, first 2 shown]
	v_lshrrev_b64 v[18:19], 24, v[9:10]
	v_lshrrev_b32_e32 v97, 8, v15
	v_lshrrev_b32_e32 v96, 8, v16
	;; [unrolled: 1-line block ×8, first 2 shown]
	s_waitcnt lgkmcnt(7)
	v_add_u32_sdwa v67, v1, v95 dst_sel:DWORD dst_unused:UNUSED_PAD src0_sel:DWORD src1_sel:WORD_0
	s_waitcnt lgkmcnt(6)
	v_add_u32_sdwa v68, v2, v98 dst_sel:DWORD dst_unused:UNUSED_PAD src0_sel:DWORD src1_sel:WORD_0
	s_waitcnt lgkmcnt(5)
	v_add_u32_sdwa v69, v3, v100 dst_sel:DWORD dst_unused:UNUSED_PAD src0_sel:DWORD src1_sel:WORD_0
	s_waitcnt lgkmcnt(4)
	v_add_u32_sdwa v71, v4, v102 dst_sel:DWORD dst_unused:UNUSED_PAD src0_sel:DWORD src1_sel:WORD_0
	s_waitcnt lgkmcnt(3)
	v_add_u32_sdwa v72, v5, v116 dst_sel:DWORD dst_unused:UNUSED_PAD src0_sel:DWORD src1_sel:WORD_0
	s_waitcnt lgkmcnt(2)
	v_add_u32_sdwa v73, v6, v118 dst_sel:DWORD dst_unused:UNUSED_PAD src0_sel:DWORD src1_sel:WORD_0
	s_waitcnt lgkmcnt(1)
	v_add_u32_sdwa v74, v7, v120 dst_sel:DWORD dst_unused:UNUSED_PAD src0_sel:DWORD src1_sel:WORD_0
	s_waitcnt lgkmcnt(0)
	v_add_u32_sdwa v75, v8, v121 dst_sel:DWORD dst_unused:UNUSED_PAD src0_sel:DWORD src1_sel:WORD_0
	s_andn2_b64 vcc, exec, s[28:29]
	s_mov_b64 s[28:29], -1
                                        ; implicit-def: $vgpr7
                                        ; implicit-def: $vgpr4
	s_cbranch_vccnz .LBB9_5
; %bb.18:                               ;   in Loop: Header=BB9_6 Depth=1
	v_add_u32_sdwa v1, v115, v32 dst_sel:DWORD dst_unused:UNUSED_PAD src0_sel:DWORD src1_sel:WORD_0
	; wave barrier
	ds_write_b8 v1, v15
	v_add_u32_sdwa v1, v114, v33 dst_sel:DWORD dst_unused:UNUSED_PAD src0_sel:DWORD src1_sel:WORD_0
	ds_write_b8 v1, v97
	v_add_u32_sdwa v1, v113, v34 dst_sel:DWORD dst_unused:UNUSED_PAD src0_sel:DWORD src1_sel:WORD_0
	;; [unrolled: 2-line block ×18, first 2 shown]
	ds_write_b8 v1, v79
	ds_write_b8 v62, v17
	;; [unrolled: 1-line block ×14, first 2 shown]
	s_waitcnt lgkmcnt(0)
	; wave barrier
	ds_read2_b64 v[1:4], v24 offset1:1
	ds_read2_b64 v[5:8], v24 offset0:2 offset1:3
	s_mov_b64 s[28:29], 0
	s_waitcnt lgkmcnt(0)
	; wave barrier
	s_branch .LBB9_5
.LBB9_19:
	v_add_u32_sdwa v1, v115, v32 dst_sel:DWORD dst_unused:UNUSED_PAD src0_sel:DWORD src1_sel:WORD_0
	; wave barrier
	ds_write_b8 v1, v15
	v_add_u32_sdwa v1, v114, v33 dst_sel:DWORD dst_unused:UNUSED_PAD src0_sel:DWORD src1_sel:WORD_0
	ds_write_b8 v1, v97
	v_add_u32_sdwa v1, v113, v34 dst_sel:DWORD dst_unused:UNUSED_PAD src0_sel:DWORD src1_sel:WORD_0
	;; [unrolled: 2-line block ×18, first 2 shown]
	ds_write_b8 v1, v79
	ds_write_b8 v62, v17
	;; [unrolled: 1-line block ×14, first 2 shown]
	s_waitcnt lgkmcnt(0)
	; wave barrier
	ds_read2_b64 v[1:4], v24 offset1:1
	ds_read2_b64 v[5:8], v24 offset0:2 offset1:3
	s_waitcnt lgkmcnt(0)
	; wave barrier
	s_and_saveexec_b64 s[8:9], s[4:5]
	s_cbranch_execz .LBB9_23
; %bb.20:
	v_lshlrev_b32_e32 v9, 2, v0
	v_mov_b32_e32 v10, 0xc0
	ds_write2_b32 v9, v10, v10 offset0:3 offset1:21
	s_and_b64 exec, exec, s[2:3]
	s_cbranch_execz .LBB9_23
; %bb.21:
	ds_write2_b32 v9, v10, v10 offset0:9 offset1:27
	s_and_saveexec_b64 s[10:11], s[0:1]
	s_xor_b64 s[10:11], exec, s[10:11]
; %bb.22:
	v_mov_b32_e32 v10, 0xc0
	ds_write2_b32 v9, v10, v10 offset0:15 offset1:33
.LBB9_23:
	s_or_b64 exec, exec, s[8:9]
	s_movk_i32 s7, 0xff
	v_and_b32_sdwa v10, v8, s7 dst_sel:DWORD dst_unused:UNUSED_PAD src0_sel:WORD_1 src1_sel:DWORD
	v_lshrrev_b32_e32 v9, 24, v8
	v_cmp_ne_u16_e32 vcc, v10, v9
	s_waitcnt lgkmcnt(0)
	; wave barrier
	ds_write_b8 v0, v9
	s_and_saveexec_b64 s[8:9], vcc
	s_cbranch_execz .LBB9_25
; %bb.24:
	v_mov_b32_e32 v12, 2
	v_lshlrev_b32_sdwa v9, v12, v9 dst_sel:DWORD dst_unused:UNUSED_PAD src0_sel:DWORD src1_sel:WORD_0
	v_or_b32_e32 v12, 31, v24
	v_lshlrev_b32_e32 v11, 2, v10
	ds_write_b32 v9, v12 offset:12
	ds_write_b32 v11, v12 offset:84
.LBB9_25:
	s_or_b64 exec, exec, s[8:9]
	v_lshrrev_b32_e32 v9, 8, v8
	v_cmp_ne_u16_sdwa s[10:11], v9, v10 src0_sel:BYTE_0 src1_sel:DWORD
	s_and_saveexec_b64 s[8:9], s[10:11]
	s_cbranch_execz .LBB9_27
; %bb.26:
	v_and_b32_sdwa v10, v8, s7 dst_sel:DWORD dst_unused:UNUSED_PAD src0_sel:WORD_1 src1_sel:DWORD
	v_mov_b32_e32 v11, 2
	v_lshlrev_b32_e32 v10, 2, v10
	v_or_b32_e32 v12, 30, v24
	v_lshlrev_b32_sdwa v11, v11, v9 dst_sel:DWORD dst_unused:UNUSED_PAD src0_sel:DWORD src1_sel:BYTE_0
	ds_write_b32 v10, v12 offset:12
	ds_write_b32 v11, v12 offset:84
.LBB9_27:
	s_or_b64 exec, exec, s[8:9]
	v_cmp_ne_u16_sdwa s[10:11], v8, v9 src0_sel:BYTE_0 src1_sel:BYTE_0
	s_and_saveexec_b64 s[8:9], s[10:11]
	s_cbranch_execz .LBB9_29
; %bb.28:
	v_mov_b32_e32 v10, 2
	v_lshlrev_b32_sdwa v11, v10, v8 dst_sel:DWORD dst_unused:UNUSED_PAD src0_sel:DWORD src1_sel:BYTE_0
	v_lshlrev_b32_sdwa v9, v10, v9 dst_sel:DWORD dst_unused:UNUSED_PAD src0_sel:DWORD src1_sel:BYTE_0
	v_or_b32_e32 v10, 29, v24
	ds_write_b32 v9, v10 offset:12
	ds_write_b32 v11, v10 offset:84
.LBB9_29:
	s_or_b64 exec, exec, s[8:9]
	v_lshrrev_b64 v[9:10], 24, v[7:8]
	v_cmp_ne_u16_sdwa s[10:11], v9, v8 src0_sel:BYTE_0 src1_sel:BYTE_0
	s_and_saveexec_b64 s[8:9], s[10:11]
	s_cbranch_execz .LBB9_31
; %bb.30:
	v_mov_b32_e32 v10, 2
	v_lshlrev_b32_sdwa v11, v10, v9 dst_sel:DWORD dst_unused:UNUSED_PAD src0_sel:DWORD src1_sel:BYTE_0
	v_lshlrev_b32_sdwa v8, v10, v8 dst_sel:DWORD dst_unused:UNUSED_PAD src0_sel:DWORD src1_sel:BYTE_0
	v_or_b32_e32 v10, 28, v24
	ds_write_b32 v8, v10 offset:12
	ds_write_b32 v11, v10 offset:84
.LBB9_31:
	s_or_b64 exec, exec, s[8:9]
	v_and_b32_sdwa v10, v7, s7 dst_sel:DWORD dst_unused:UNUSED_PAD src0_sel:WORD_1 src1_sel:DWORD
	v_cmp_ne_u16_sdwa s[10:11], v10, v9 src0_sel:DWORD src1_sel:BYTE_0
	s_and_saveexec_b64 s[8:9], s[10:11]
	s_cbranch_execz .LBB9_33
; %bb.32:
	v_mov_b32_e32 v11, 2
	v_lshlrev_b32_sdwa v9, v11, v9 dst_sel:DWORD dst_unused:UNUSED_PAD src0_sel:DWORD src1_sel:BYTE_0
	v_or_b32_e32 v11, 27, v24
	v_lshlrev_b32_e32 v8, 2, v10
	ds_write_b32 v9, v11 offset:12
	ds_write_b32 v8, v11 offset:84
.LBB9_33:
	s_or_b64 exec, exec, s[8:9]
	v_lshrrev_b32_e32 v8, 8, v7
	v_cmp_ne_u16_sdwa s[10:11], v8, v10 src0_sel:BYTE_0 src1_sel:DWORD
	s_and_saveexec_b64 s[8:9], s[10:11]
	s_cbranch_execnz .LBB9_90
; %bb.34:
	s_or_b64 exec, exec, s[8:9]
	v_cmp_ne_u16_sdwa s[10:11], v7, v8 src0_sel:BYTE_0 src1_sel:BYTE_0
	s_and_saveexec_b64 s[8:9], s[10:11]
	s_cbranch_execnz .LBB9_91
.LBB9_35:
	s_or_b64 exec, exec, s[8:9]
	v_cmp_ne_u16_sdwa s[10:11], v6, v7 src0_sel:BYTE_3 src1_sel:BYTE_0
	s_and_saveexec_b64 s[8:9], s[10:11]
	s_cbranch_execz .LBB9_37
.LBB9_36:
	s_mov_b32 s7, 0xffff
	v_mov_b32_e32 v9, 2
	v_and_b32_sdwa v8, s7, v6 dst_sel:DWORD dst_unused:UNUSED_PAD src0_sel:DWORD src1_sel:BYTE_3
	v_lshlrev_b32_sdwa v7, v9, v7 dst_sel:DWORD dst_unused:UNUSED_PAD src0_sel:DWORD src1_sel:BYTE_0
	v_or_b32_e32 v9, 24, v24
	v_lshlrev_b32_e32 v8, 2, v8
	ds_write_b32 v7, v9 offset:12
	ds_write_b32 v8, v9 offset:84
.LBB9_37:
	s_or_b64 exec, exec, s[8:9]
	s_movk_i32 s7, 0xff
	v_and_b32_sdwa v8, v6, s7 dst_sel:DWORD dst_unused:UNUSED_PAD src0_sel:WORD_1 src1_sel:DWORD
	v_cmp_ne_u16_sdwa s[10:11], v8, v6 src0_sel:DWORD src1_sel:BYTE_3
	s_and_saveexec_b64 s[8:9], s[10:11]
	s_cbranch_execz .LBB9_39
; %bb.38:
	s_mov_b32 s7, 0xffff
	v_and_b32_sdwa v7, s7, v6 dst_sel:DWORD dst_unused:UNUSED_PAD src0_sel:DWORD src1_sel:BYTE_3
	v_lshlrev_b32_e32 v7, 2, v7
	v_or_b32_e32 v10, 23, v24
	v_lshlrev_b32_e32 v9, 2, v8
	ds_write_b32 v7, v10 offset:12
	ds_write_b32 v9, v10 offset:84
.LBB9_39:
	s_or_b64 exec, exec, s[8:9]
	v_lshrrev_b32_e32 v7, 8, v6
	v_cmp_ne_u16_sdwa s[10:11], v7, v8 src0_sel:BYTE_0 src1_sel:DWORD
	s_and_saveexec_b64 s[8:9], s[10:11]
	s_cbranch_execz .LBB9_41
; %bb.40:
	s_movk_i32 s7, 0xff
	v_and_b32_sdwa v8, v6, s7 dst_sel:DWORD dst_unused:UNUSED_PAD src0_sel:WORD_1 src1_sel:DWORD
	v_mov_b32_e32 v9, 2
	v_lshlrev_b32_e32 v8, 2, v8
	v_or_b32_e32 v10, 22, v24
	v_lshlrev_b32_sdwa v9, v9, v7 dst_sel:DWORD dst_unused:UNUSED_PAD src0_sel:DWORD src1_sel:BYTE_0
	ds_write_b32 v8, v10 offset:12
	ds_write_b32 v9, v10 offset:84
.LBB9_41:
	s_or_b64 exec, exec, s[8:9]
	v_cmp_ne_u16_sdwa s[10:11], v6, v7 src0_sel:BYTE_0 src1_sel:BYTE_0
	s_and_saveexec_b64 s[8:9], s[10:11]
	s_cbranch_execz .LBB9_43
; %bb.42:
	v_mov_b32_e32 v8, 2
	v_lshlrev_b32_sdwa v9, v8, v6 dst_sel:DWORD dst_unused:UNUSED_PAD src0_sel:DWORD src1_sel:BYTE_0
	v_lshlrev_b32_sdwa v7, v8, v7 dst_sel:DWORD dst_unused:UNUSED_PAD src0_sel:DWORD src1_sel:BYTE_0
	v_or_b32_e32 v8, 21, v24
	ds_write_b32 v7, v8 offset:12
	ds_write_b32 v9, v8 offset:84
.LBB9_43:
	s_or_b64 exec, exec, s[8:9]
	v_lshrrev_b64 v[7:8], 24, v[5:6]
	v_cmp_ne_u16_sdwa s[10:11], v7, v6 src0_sel:BYTE_0 src1_sel:BYTE_0
	s_and_saveexec_b64 s[8:9], s[10:11]
	s_cbranch_execz .LBB9_45
; %bb.44:
	v_mov_b32_e32 v8, 2
	v_lshlrev_b32_sdwa v9, v8, v7 dst_sel:DWORD dst_unused:UNUSED_PAD src0_sel:DWORD src1_sel:BYTE_0
	v_lshlrev_b32_sdwa v6, v8, v6 dst_sel:DWORD dst_unused:UNUSED_PAD src0_sel:DWORD src1_sel:BYTE_0
	v_or_b32_e32 v8, 20, v24
	ds_write_b32 v6, v8 offset:12
	ds_write_b32 v9, v8 offset:84
.LBB9_45:
	s_or_b64 exec, exec, s[8:9]
	s_movk_i32 s7, 0xff
	v_and_b32_sdwa v8, v5, s7 dst_sel:DWORD dst_unused:UNUSED_PAD src0_sel:WORD_1 src1_sel:DWORD
	v_cmp_ne_u16_sdwa s[10:11], v8, v7 src0_sel:DWORD src1_sel:BYTE_0
	s_and_saveexec_b64 s[8:9], s[10:11]
	s_cbranch_execz .LBB9_47
; %bb.46:
	v_mov_b32_e32 v9, 2
	v_lshlrev_b32_sdwa v7, v9, v7 dst_sel:DWORD dst_unused:UNUSED_PAD src0_sel:DWORD src1_sel:BYTE_0
	v_or_b32_e32 v9, 19, v24
	v_lshlrev_b32_e32 v6, 2, v8
	ds_write_b32 v7, v9 offset:12
	ds_write_b32 v6, v9 offset:84
.LBB9_47:
	s_or_b64 exec, exec, s[8:9]
	v_lshrrev_b32_e32 v6, 8, v5
	v_cmp_ne_u16_sdwa s[10:11], v6, v8 src0_sel:BYTE_0 src1_sel:DWORD
	s_and_saveexec_b64 s[8:9], s[10:11]
	s_cbranch_execz .LBB9_49
; %bb.48:
	v_and_b32_sdwa v7, v5, s7 dst_sel:DWORD dst_unused:UNUSED_PAD src0_sel:WORD_1 src1_sel:DWORD
	v_mov_b32_e32 v8, 2
	v_lshlrev_b32_e32 v7, 2, v7
	v_or_b32_e32 v9, 18, v24
	v_lshlrev_b32_sdwa v8, v8, v6 dst_sel:DWORD dst_unused:UNUSED_PAD src0_sel:DWORD src1_sel:BYTE_0
	ds_write_b32 v7, v9 offset:12
	ds_write_b32 v8, v9 offset:84
.LBB9_49:
	s_or_b64 exec, exec, s[8:9]
	v_cmp_ne_u16_sdwa s[10:11], v5, v6 src0_sel:BYTE_0 src1_sel:BYTE_0
	s_and_saveexec_b64 s[8:9], s[10:11]
	s_cbranch_execz .LBB9_51
; %bb.50:
	v_mov_b32_e32 v7, 2
	v_lshlrev_b32_sdwa v8, v7, v5 dst_sel:DWORD dst_unused:UNUSED_PAD src0_sel:DWORD src1_sel:BYTE_0
	v_lshlrev_b32_sdwa v6, v7, v6 dst_sel:DWORD dst_unused:UNUSED_PAD src0_sel:DWORD src1_sel:BYTE_0
	v_or_b32_e32 v7, 17, v24
	ds_write_b32 v6, v7 offset:12
	ds_write_b32 v8, v7 offset:84
.LBB9_51:
	s_or_b64 exec, exec, s[8:9]
	v_lshrrev_b32_e32 v6, 8, v4
	v_cmp_ne_u16_sdwa s[10:11], v4, v5 src0_sel:BYTE_3 src1_sel:BYTE_0
	s_and_saveexec_b64 s[8:9], s[10:11]
	s_cbranch_execz .LBB9_53
; %bb.52:
	s_mov_b32 s7, 0xffff
	v_mov_b32_e32 v8, 2
	v_and_b32_sdwa v7, s7, v4 dst_sel:DWORD dst_unused:UNUSED_PAD src0_sel:DWORD src1_sel:BYTE_3
	v_lshlrev_b32_sdwa v5, v8, v5 dst_sel:DWORD dst_unused:UNUSED_PAD src0_sel:DWORD src1_sel:BYTE_0
	v_or_b32_e32 v8, 16, v24
	v_lshlrev_b32_e32 v7, 2, v7
	ds_write_b32 v5, v8 offset:12
	ds_write_b32 v7, v8 offset:84
.LBB9_53:
	s_or_b64 exec, exec, s[8:9]
	s_movk_i32 s7, 0xff
	v_and_b32_sdwa v5, v4, s7 dst_sel:DWORD dst_unused:UNUSED_PAD src0_sel:WORD_1 src1_sel:DWORD
	v_cmp_ne_u16_sdwa s[10:11], v5, v4 src0_sel:DWORD src1_sel:BYTE_3
	s_and_saveexec_b64 s[8:9], s[10:11]
	s_cbranch_execnz .LBB9_92
; %bb.54:
	s_or_b64 exec, exec, s[8:9]
	v_cmp_ne_u16_sdwa s[10:11], v6, v5 src0_sel:BYTE_0 src1_sel:DWORD
	s_and_saveexec_b64 s[8:9], s[10:11]
	s_cbranch_execnz .LBB9_93
.LBB9_55:
	s_or_b64 exec, exec, s[8:9]
	v_cmp_ne_u16_sdwa s[10:11], v4, v6 src0_sel:BYTE_0 src1_sel:BYTE_0
	s_and_saveexec_b64 s[8:9], s[10:11]
	s_cbranch_execz .LBB9_57
.LBB9_56:
	v_mov_b32_e32 v5, 2
	v_lshlrev_b32_sdwa v7, v5, v4 dst_sel:DWORD dst_unused:UNUSED_PAD src0_sel:DWORD src1_sel:BYTE_0
	v_lshlrev_b32_sdwa v5, v5, v6 dst_sel:DWORD dst_unused:UNUSED_PAD src0_sel:DWORD src1_sel:BYTE_0
	v_or_b32_e32 v6, 13, v24
	ds_write_b32 v5, v6 offset:12
	ds_write_b32 v7, v6 offset:84
.LBB9_57:
	s_or_b64 exec, exec, s[8:9]
	v_lshrrev_b32_e32 v5, 8, v3
	v_cmp_ne_u16_sdwa s[10:11], v3, v4 src0_sel:BYTE_3 src1_sel:BYTE_0
	s_and_saveexec_b64 s[8:9], s[10:11]
	s_cbranch_execz .LBB9_59
; %bb.58:
	s_mov_b32 s7, 0xffff
	v_mov_b32_e32 v7, 2
	v_and_b32_sdwa v6, s7, v3 dst_sel:DWORD dst_unused:UNUSED_PAD src0_sel:DWORD src1_sel:BYTE_3
	v_lshlrev_b32_sdwa v4, v7, v4 dst_sel:DWORD dst_unused:UNUSED_PAD src0_sel:DWORD src1_sel:BYTE_0
	v_or_b32_e32 v7, 12, v24
	v_lshlrev_b32_e32 v6, 2, v6
	ds_write_b32 v4, v7 offset:12
	ds_write_b32 v6, v7 offset:84
.LBB9_59:
	s_or_b64 exec, exec, s[8:9]
	s_movk_i32 s7, 0xff
	v_and_b32_sdwa v4, v3, s7 dst_sel:DWORD dst_unused:UNUSED_PAD src0_sel:WORD_1 src1_sel:DWORD
	v_cmp_ne_u16_sdwa s[10:11], v4, v3 src0_sel:DWORD src1_sel:BYTE_3
	s_and_saveexec_b64 s[8:9], s[10:11]
	s_cbranch_execnz .LBB9_94
; %bb.60:
	s_or_b64 exec, exec, s[8:9]
	v_cmp_ne_u16_sdwa s[10:11], v5, v4 src0_sel:BYTE_0 src1_sel:DWORD
	s_and_saveexec_b64 s[8:9], s[10:11]
	s_cbranch_execnz .LBB9_95
.LBB9_61:
	s_or_b64 exec, exec, s[8:9]
	v_cmp_ne_u16_sdwa s[10:11], v3, v5 src0_sel:BYTE_0 src1_sel:BYTE_0
	s_and_saveexec_b64 s[8:9], s[10:11]
	s_cbranch_execz .LBB9_63
.LBB9_62:
	v_mov_b32_e32 v4, 2
	v_lshlrev_b32_sdwa v6, v4, v3 dst_sel:DWORD dst_unused:UNUSED_PAD src0_sel:DWORD src1_sel:BYTE_0
	v_lshlrev_b32_sdwa v4, v4, v5 dst_sel:DWORD dst_unused:UNUSED_PAD src0_sel:DWORD src1_sel:BYTE_0
	v_or_b32_e32 v5, 9, v24
	ds_write_b32 v4, v5 offset:12
	ds_write_b32 v6, v5 offset:84
.LBB9_63:
	s_or_b64 exec, exec, s[8:9]
	v_lshrrev_b32_e32 v4, 8, v2
	v_cmp_ne_u16_sdwa s[10:11], v2, v3 src0_sel:BYTE_3 src1_sel:BYTE_0
	s_and_saveexec_b64 s[8:9], s[10:11]
	s_cbranch_execz .LBB9_65
; %bb.64:
	s_mov_b32 s7, 0xffff
	v_mov_b32_e32 v6, 2
	v_and_b32_sdwa v5, s7, v2 dst_sel:DWORD dst_unused:UNUSED_PAD src0_sel:DWORD src1_sel:BYTE_3
	v_lshlrev_b32_sdwa v3, v6, v3 dst_sel:DWORD dst_unused:UNUSED_PAD src0_sel:DWORD src1_sel:BYTE_0
	v_or_b32_e32 v6, 8, v24
	v_lshlrev_b32_e32 v5, 2, v5
	ds_write_b32 v3, v6 offset:12
	ds_write_b32 v5, v6 offset:84
.LBB9_65:
	s_or_b64 exec, exec, s[8:9]
	s_movk_i32 s7, 0xff
	v_and_b32_sdwa v3, v2, s7 dst_sel:DWORD dst_unused:UNUSED_PAD src0_sel:WORD_1 src1_sel:DWORD
	v_cmp_ne_u16_sdwa s[10:11], v3, v2 src0_sel:DWORD src1_sel:BYTE_3
	s_and_saveexec_b64 s[8:9], s[10:11]
	s_cbranch_execnz .LBB9_96
; %bb.66:
	s_or_b64 exec, exec, s[8:9]
	v_cmp_ne_u16_sdwa s[10:11], v4, v3 src0_sel:BYTE_0 src1_sel:DWORD
	s_and_saveexec_b64 s[8:9], s[10:11]
	s_cbranch_execnz .LBB9_97
.LBB9_67:
	s_or_b64 exec, exec, s[8:9]
	v_cmp_ne_u16_sdwa s[10:11], v2, v4 src0_sel:BYTE_0 src1_sel:BYTE_0
	s_and_saveexec_b64 s[8:9], s[10:11]
	s_cbranch_execz .LBB9_69
.LBB9_68:
	v_mov_b32_e32 v3, 2
	v_lshlrev_b32_sdwa v5, v3, v2 dst_sel:DWORD dst_unused:UNUSED_PAD src0_sel:DWORD src1_sel:BYTE_0
	v_lshlrev_b32_sdwa v3, v3, v4 dst_sel:DWORD dst_unused:UNUSED_PAD src0_sel:DWORD src1_sel:BYTE_0
	v_or_b32_e32 v4, 5, v24
	ds_write_b32 v3, v4 offset:12
	ds_write_b32 v5, v4 offset:84
.LBB9_69:
	s_or_b64 exec, exec, s[8:9]
	v_lshrrev_b32_e32 v3, 8, v1
	v_cmp_ne_u16_sdwa s[10:11], v1, v2 src0_sel:BYTE_3 src1_sel:BYTE_0
	s_and_saveexec_b64 s[8:9], s[10:11]
	s_cbranch_execz .LBB9_71
; %bb.70:
	s_mov_b32 s7, 0xffff
	v_mov_b32_e32 v5, 2
	v_and_b32_sdwa v4, s7, v1 dst_sel:DWORD dst_unused:UNUSED_PAD src0_sel:DWORD src1_sel:BYTE_3
	v_lshlrev_b32_sdwa v2, v5, v2 dst_sel:DWORD dst_unused:UNUSED_PAD src0_sel:DWORD src1_sel:BYTE_0
	v_or_b32_e32 v5, 4, v24
	v_lshlrev_b32_e32 v4, 2, v4
	ds_write_b32 v2, v5 offset:12
	ds_write_b32 v4, v5 offset:84
.LBB9_71:
	s_or_b64 exec, exec, s[8:9]
	s_movk_i32 s7, 0xff
	v_and_b32_sdwa v2, v1, s7 dst_sel:DWORD dst_unused:UNUSED_PAD src0_sel:WORD_1 src1_sel:DWORD
	v_cmp_ne_u16_sdwa s[10:11], v2, v1 src0_sel:DWORD src1_sel:BYTE_3
	s_and_saveexec_b64 s[8:9], s[10:11]
	s_cbranch_execnz .LBB9_98
; %bb.72:
	s_or_b64 exec, exec, s[8:9]
	v_cmp_ne_u16_sdwa s[10:11], v3, v2 src0_sel:BYTE_0 src1_sel:DWORD
	s_and_saveexec_b64 s[8:9], s[10:11]
	s_cbranch_execnz .LBB9_99
.LBB9_73:
	s_or_b64 exec, exec, s[8:9]
	v_cmp_ne_u16_sdwa s[10:11], v1, v3 src0_sel:BYTE_0 src1_sel:BYTE_0
	s_and_saveexec_b64 s[8:9], s[10:11]
	s_cbranch_execz .LBB9_75
.LBB9_74:
	v_mov_b32_e32 v2, 2
	v_lshlrev_b32_sdwa v4, v2, v1 dst_sel:DWORD dst_unused:UNUSED_PAD src0_sel:DWORD src1_sel:BYTE_0
	v_lshlrev_b32_sdwa v2, v2, v3 dst_sel:DWORD dst_unused:UNUSED_PAD src0_sel:DWORD src1_sel:BYTE_0
	v_or_b32_e32 v3, 1, v24
	ds_write_b32 v2, v3 offset:12
	ds_write_b32 v4, v3 offset:84
.LBB9_75:
	s_or_b64 exec, exec, s[8:9]
	v_cmp_eq_u32_e32 vcc, 0, v0
	v_cmp_ne_u32_e64 s[8:9], 0, v0
	s_waitcnt lgkmcnt(0)
	; wave barrier
	s_and_saveexec_b64 s[10:11], s[8:9]
	s_cbranch_execz .LBB9_78
; %bb.76:
	v_add_u32_e32 v2, -1, v0
	ds_read_u8 v3, v2
	s_waitcnt lgkmcnt(0)
	v_cmp_ne_u16_sdwa s[8:9], v3, v1 src0_sel:DWORD src1_sel:BYTE_0
	s_and_b64 exec, exec, s[8:9]
	s_cbranch_execz .LBB9_78
; %bb.77:
	v_mov_b32_e32 v3, 2
	v_lshlrev_b32_sdwa v3, v3, v1 dst_sel:DWORD dst_unused:UNUSED_PAD src0_sel:DWORD src1_sel:BYTE_0
	ds_write_b32 v3, v24 offset:12
	ds_read_u8 v2, v2
	s_waitcnt lgkmcnt(0)
	v_lshlrev_b32_e32 v2, 2, v2
	ds_write_b32 v2, v24 offset:84
.LBB9_78:
	s_or_b64 exec, exec, s[10:11]
	s_waitcnt lgkmcnt(0)
	; wave barrier
	s_and_saveexec_b64 s[8:9], vcc
; %bb.79:
	v_mov_b32_e32 v2, 2
	v_lshlrev_b32_sdwa v1, v2, v1 dst_sel:DWORD dst_unused:UNUSED_PAD src0_sel:DWORD src1_sel:BYTE_0
	v_mov_b32_e32 v2, 0
	ds_write_b32 v1, v2 offset:12
; %bb.80:
	s_or_b64 exec, exec, s[8:9]
	v_mad_u32_u24 v1, v0, 3, v0
	s_waitcnt lgkmcnt(0)
	; wave barrier
	s_and_saveexec_b64 s[8:9], s[4:5]
	s_cbranch_execnz .LBB9_100
; %bb.81:
	s_or_b64 exec, exec, s[8:9]
	s_and_saveexec_b64 s[8:9], s[2:3]
	s_cbranch_execnz .LBB9_101
.LBB9_82:
	s_or_b64 exec, exec, s[8:9]
	s_and_saveexec_b64 s[8:9], s[0:1]
	s_cbranch_execz .LBB9_84
.LBB9_83:
	ds_read2_b32 v[1:2], v1 offset0:15 offset1:33
	ds_read_u8 v3, v0 offset:220
	s_waitcnt lgkmcnt(1)
	v_sub_u32_e32 v1, v2, v1
	s_waitcnt lgkmcnt(0)
	v_add_u16_e32 v1, v3, v1
	ds_write_b8 v0, v1 offset:220
.LBB9_84:
	s_or_b64 exec, exec, s[8:9]
	s_mul_i32 s8, s6, 18
	v_mov_b32_e32 v1, s8
	s_waitcnt lgkmcnt(0)
	; wave barrier
	s_and_saveexec_b64 s[6:7], s[4:5]
	s_cbranch_execnz .LBB9_102
; %bb.85:
	s_or_b64 exec, exec, s[6:7]
	s_and_saveexec_b64 s[4:5], s[2:3]
	s_cbranch_execnz .LBB9_103
.LBB9_86:
	s_or_b64 exec, exec, s[4:5]
	s_and_saveexec_b64 s[2:3], s[0:1]
	s_cbranch_execnz .LBB9_104
.LBB9_87:
	s_endpgm
.LBB9_88:
	v_mov_b32_e32 v9, 0
	ds_write_b8 v0, v9 offset:208
	s_or_b64 exec, exec, s[0:1]
	v_cmp_gt_u32_e64 s[2:3], 12, v0
	s_and_saveexec_b64 s[0:1], s[2:3]
	s_cbranch_execz .LBB9_2
.LBB9_89:
	v_mov_b32_e32 v9, 0
	ds_write_b8 v0, v9 offset:214
	s_or_b64 exec, exec, s[0:1]
	v_cmp_gt_u32_e64 s[0:1], 6, v0
	s_and_saveexec_b64 s[8:9], s[0:1]
	s_cbranch_execnz .LBB9_3
	s_branch .LBB9_4
.LBB9_90:
	v_and_b32_sdwa v9, v7, s7 dst_sel:DWORD dst_unused:UNUSED_PAD src0_sel:WORD_1 src1_sel:DWORD
	v_mov_b32_e32 v10, 2
	v_lshlrev_b32_e32 v9, 2, v9
	v_or_b32_e32 v11, 26, v24
	v_lshlrev_b32_sdwa v10, v10, v8 dst_sel:DWORD dst_unused:UNUSED_PAD src0_sel:DWORD src1_sel:BYTE_0
	ds_write_b32 v9, v11 offset:12
	ds_write_b32 v10, v11 offset:84
	s_or_b64 exec, exec, s[8:9]
	v_cmp_ne_u16_sdwa s[10:11], v7, v8 src0_sel:BYTE_0 src1_sel:BYTE_0
	s_and_saveexec_b64 s[8:9], s[10:11]
	s_cbranch_execz .LBB9_35
.LBB9_91:
	v_mov_b32_e32 v9, 2
	v_lshlrev_b32_sdwa v10, v9, v7 dst_sel:DWORD dst_unused:UNUSED_PAD src0_sel:DWORD src1_sel:BYTE_0
	v_lshlrev_b32_sdwa v8, v9, v8 dst_sel:DWORD dst_unused:UNUSED_PAD src0_sel:DWORD src1_sel:BYTE_0
	v_or_b32_e32 v9, 25, v24
	ds_write_b32 v8, v9 offset:12
	ds_write_b32 v10, v9 offset:84
	s_or_b64 exec, exec, s[8:9]
	v_cmp_ne_u16_sdwa s[10:11], v6, v7 src0_sel:BYTE_3 src1_sel:BYTE_0
	s_and_saveexec_b64 s[8:9], s[10:11]
	s_cbranch_execnz .LBB9_36
	s_branch .LBB9_37
.LBB9_92:
	s_mov_b32 s7, 0xffff
	v_and_b32_sdwa v7, s7, v4 dst_sel:DWORD dst_unused:UNUSED_PAD src0_sel:DWORD src1_sel:BYTE_3
	v_lshlrev_b32_e32 v7, 2, v7
	v_or_b32_e32 v9, 15, v24
	v_lshlrev_b32_e32 v8, 2, v5
	ds_write_b32 v7, v9 offset:12
	ds_write_b32 v8, v9 offset:84
	s_or_b64 exec, exec, s[8:9]
	v_cmp_ne_u16_sdwa s[10:11], v6, v5 src0_sel:BYTE_0 src1_sel:DWORD
	s_and_saveexec_b64 s[8:9], s[10:11]
	s_cbranch_execz .LBB9_55
.LBB9_93:
	s_movk_i32 s7, 0xff
	v_and_b32_sdwa v5, v4, s7 dst_sel:DWORD dst_unused:UNUSED_PAD src0_sel:WORD_1 src1_sel:DWORD
	v_mov_b32_e32 v7, 2
	v_lshlrev_b32_e32 v5, 2, v5
	v_or_b32_e32 v8, 14, v24
	v_lshlrev_b32_sdwa v7, v7, v6 dst_sel:DWORD dst_unused:UNUSED_PAD src0_sel:DWORD src1_sel:BYTE_0
	ds_write_b32 v5, v8 offset:12
	ds_write_b32 v7, v8 offset:84
	s_or_b64 exec, exec, s[8:9]
	v_cmp_ne_u16_sdwa s[10:11], v4, v6 src0_sel:BYTE_0 src1_sel:BYTE_0
	s_and_saveexec_b64 s[8:9], s[10:11]
	s_cbranch_execnz .LBB9_56
	s_branch .LBB9_57
.LBB9_94:
	s_mov_b32 s7, 0xffff
	v_and_b32_sdwa v6, s7, v3 dst_sel:DWORD dst_unused:UNUSED_PAD src0_sel:DWORD src1_sel:BYTE_3
	v_lshlrev_b32_e32 v6, 2, v6
	v_or_b32_e32 v8, 11, v24
	v_lshlrev_b32_e32 v7, 2, v4
	ds_write_b32 v6, v8 offset:12
	ds_write_b32 v7, v8 offset:84
	s_or_b64 exec, exec, s[8:9]
	v_cmp_ne_u16_sdwa s[10:11], v5, v4 src0_sel:BYTE_0 src1_sel:DWORD
	s_and_saveexec_b64 s[8:9], s[10:11]
	s_cbranch_execz .LBB9_61
.LBB9_95:
	s_movk_i32 s7, 0xff
	v_and_b32_sdwa v4, v3, s7 dst_sel:DWORD dst_unused:UNUSED_PAD src0_sel:WORD_1 src1_sel:DWORD
	v_mov_b32_e32 v6, 2
	v_lshlrev_b32_e32 v4, 2, v4
	v_or_b32_e32 v7, 10, v24
	v_lshlrev_b32_sdwa v6, v6, v5 dst_sel:DWORD dst_unused:UNUSED_PAD src0_sel:DWORD src1_sel:BYTE_0
	ds_write_b32 v4, v7 offset:12
	ds_write_b32 v6, v7 offset:84
	s_or_b64 exec, exec, s[8:9]
	v_cmp_ne_u16_sdwa s[10:11], v3, v5 src0_sel:BYTE_0 src1_sel:BYTE_0
	s_and_saveexec_b64 s[8:9], s[10:11]
	s_cbranch_execnz .LBB9_62
	s_branch .LBB9_63
.LBB9_96:
	s_mov_b32 s7, 0xffff
	v_and_b32_sdwa v5, s7, v2 dst_sel:DWORD dst_unused:UNUSED_PAD src0_sel:DWORD src1_sel:BYTE_3
	v_lshlrev_b32_e32 v5, 2, v5
	v_or_b32_e32 v7, 7, v24
	v_lshlrev_b32_e32 v6, 2, v3
	ds_write_b32 v5, v7 offset:12
	ds_write_b32 v6, v7 offset:84
	s_or_b64 exec, exec, s[8:9]
	v_cmp_ne_u16_sdwa s[10:11], v4, v3 src0_sel:BYTE_0 src1_sel:DWORD
	s_and_saveexec_b64 s[8:9], s[10:11]
	s_cbranch_execz .LBB9_67
.LBB9_97:
	s_movk_i32 s7, 0xff
	v_and_b32_sdwa v3, v2, s7 dst_sel:DWORD dst_unused:UNUSED_PAD src0_sel:WORD_1 src1_sel:DWORD
	v_mov_b32_e32 v5, 2
	v_lshlrev_b32_e32 v3, 2, v3
	v_or_b32_e32 v6, 6, v24
	v_lshlrev_b32_sdwa v5, v5, v4 dst_sel:DWORD dst_unused:UNUSED_PAD src0_sel:DWORD src1_sel:BYTE_0
	ds_write_b32 v3, v6 offset:12
	ds_write_b32 v5, v6 offset:84
	s_or_b64 exec, exec, s[8:9]
	v_cmp_ne_u16_sdwa s[10:11], v2, v4 src0_sel:BYTE_0 src1_sel:BYTE_0
	s_and_saveexec_b64 s[8:9], s[10:11]
	s_cbranch_execnz .LBB9_68
	s_branch .LBB9_69
.LBB9_98:
	s_mov_b32 s7, 0xffff
	v_and_b32_sdwa v4, s7, v1 dst_sel:DWORD dst_unused:UNUSED_PAD src0_sel:DWORD src1_sel:BYTE_3
	v_lshlrev_b32_e32 v4, 2, v4
	v_or_b32_e32 v6, 3, v24
	v_lshlrev_b32_e32 v5, 2, v2
	ds_write_b32 v4, v6 offset:12
	ds_write_b32 v5, v6 offset:84
	s_or_b64 exec, exec, s[8:9]
	v_cmp_ne_u16_sdwa s[10:11], v3, v2 src0_sel:BYTE_0 src1_sel:DWORD
	s_and_saveexec_b64 s[8:9], s[10:11]
	s_cbranch_execz .LBB9_73
.LBB9_99:
	s_movk_i32 s7, 0xff
	v_and_b32_sdwa v2, v1, s7 dst_sel:DWORD dst_unused:UNUSED_PAD src0_sel:WORD_1 src1_sel:DWORD
	v_mov_b32_e32 v4, 2
	v_lshlrev_b32_e32 v2, 2, v2
	v_or_b32_e32 v5, 2, v24
	v_lshlrev_b32_sdwa v4, v4, v3 dst_sel:DWORD dst_unused:UNUSED_PAD src0_sel:DWORD src1_sel:BYTE_0
	ds_write_b32 v2, v5 offset:12
	ds_write_b32 v4, v5 offset:84
	s_or_b64 exec, exec, s[8:9]
	v_cmp_ne_u16_sdwa s[10:11], v1, v3 src0_sel:BYTE_0 src1_sel:BYTE_0
	s_and_saveexec_b64 s[8:9], s[10:11]
	s_cbranch_execnz .LBB9_74
	s_branch .LBB9_75
.LBB9_100:
	ds_read2_b32 v[2:3], v1 offset0:3 offset1:21
	ds_read_u8 v4, v0 offset:208
	s_waitcnt lgkmcnt(1)
	v_sub_u32_e32 v2, v3, v2
	s_waitcnt lgkmcnt(0)
	v_add_u16_e32 v2, v4, v2
	ds_write_b8 v0, v2 offset:208
	s_or_b64 exec, exec, s[8:9]
	s_and_saveexec_b64 s[8:9], s[2:3]
	s_cbranch_execz .LBB9_82
.LBB9_101:
	ds_read2_b32 v[2:3], v1 offset0:9 offset1:27
	ds_read_u8 v4, v0 offset:214
	s_waitcnt lgkmcnt(1)
	v_sub_u32_e32 v2, v3, v2
	s_waitcnt lgkmcnt(0)
	v_add_u16_e32 v2, v4, v2
	ds_write_b8 v0, v2 offset:214
	s_or_b64 exec, exec, s[8:9]
	s_and_saveexec_b64 s[8:9], s[0:1]
	s_cbranch_execnz .LBB9_83
	s_branch .LBB9_84
.LBB9_102:
	ds_read_u8 v1, v0 offset:208
	s_add_i32 s4, s8, 6
	v_add_u32_e32 v2, s8, v0
	s_waitcnt lgkmcnt(0)
	global_store_byte v2, v1, s[30:31]
	v_mov_b32_e32 v1, s4
	s_or_b64 exec, exec, s[6:7]
	s_and_saveexec_b64 s[4:5], s[2:3]
	s_cbranch_execz .LBB9_86
.LBB9_103:
	ds_read_u8 v2, v0 offset:214
	v_add_u32_e32 v3, 6, v1
	v_add_u32_e32 v1, v1, v0
	s_waitcnt lgkmcnt(0)
	global_store_byte v1, v2, s[30:31]
	v_mov_b32_e32 v1, v3
	s_or_b64 exec, exec, s[4:5]
	s_and_saveexec_b64 s[2:3], s[0:1]
	s_cbranch_execz .LBB9_87
.LBB9_104:
	ds_read_u8 v2, v0 offset:220
	v_add_u32_e32 v0, v1, v0
	s_waitcnt lgkmcnt(0)
	global_store_byte v0, v2, s[30:31]
	s_endpgm
	.section	.rodata,"a",@progbits
	.p2align	6, 0x0
	.amdhsa_kernel _Z16histogram_kernelILj6ELj32ELj18ELN6hipcub23BlockHistogramAlgorithmE1EhEvPT3_S3_
		.amdhsa_group_segment_fixed_size 226
		.amdhsa_private_segment_fixed_size 0
		.amdhsa_kernarg_size 16
		.amdhsa_user_sgpr_count 6
		.amdhsa_user_sgpr_private_segment_buffer 1
		.amdhsa_user_sgpr_dispatch_ptr 0
		.amdhsa_user_sgpr_queue_ptr 0
		.amdhsa_user_sgpr_kernarg_segment_ptr 1
		.amdhsa_user_sgpr_dispatch_id 0
		.amdhsa_user_sgpr_flat_scratch_init 0
		.amdhsa_user_sgpr_private_segment_size 0
		.amdhsa_uses_dynamic_stack 0
		.amdhsa_system_sgpr_private_segment_wavefront_offset 0
		.amdhsa_system_sgpr_workgroup_id_x 1
		.amdhsa_system_sgpr_workgroup_id_y 0
		.amdhsa_system_sgpr_workgroup_id_z 0
		.amdhsa_system_sgpr_workgroup_info 0
		.amdhsa_system_vgpr_workitem_id 0
		.amdhsa_next_free_vgpr 124
		.amdhsa_next_free_sgpr 39
		.amdhsa_reserve_vcc 1
		.amdhsa_reserve_flat_scratch 0
		.amdhsa_float_round_mode_32 0
		.amdhsa_float_round_mode_16_64 0
		.amdhsa_float_denorm_mode_32 3
		.amdhsa_float_denorm_mode_16_64 3
		.amdhsa_dx10_clamp 1
		.amdhsa_ieee_mode 1
		.amdhsa_fp16_overflow 0
		.amdhsa_exception_fp_ieee_invalid_op 0
		.amdhsa_exception_fp_denorm_src 0
		.amdhsa_exception_fp_ieee_div_zero 0
		.amdhsa_exception_fp_ieee_overflow 0
		.amdhsa_exception_fp_ieee_underflow 0
		.amdhsa_exception_fp_ieee_inexact 0
		.amdhsa_exception_int_div_zero 0
	.end_amdhsa_kernel
	.section	.text._Z16histogram_kernelILj6ELj32ELj18ELN6hipcub23BlockHistogramAlgorithmE1EhEvPT3_S3_,"axG",@progbits,_Z16histogram_kernelILj6ELj32ELj18ELN6hipcub23BlockHistogramAlgorithmE1EhEvPT3_S3_,comdat
.Lfunc_end9:
	.size	_Z16histogram_kernelILj6ELj32ELj18ELN6hipcub23BlockHistogramAlgorithmE1EhEvPT3_S3_, .Lfunc_end9-_Z16histogram_kernelILj6ELj32ELj18ELN6hipcub23BlockHistogramAlgorithmE1EhEvPT3_S3_
                                        ; -- End function
	.set _Z16histogram_kernelILj6ELj32ELj18ELN6hipcub23BlockHistogramAlgorithmE1EhEvPT3_S3_.num_vgpr, 124
	.set _Z16histogram_kernelILj6ELj32ELj18ELN6hipcub23BlockHistogramAlgorithmE1EhEvPT3_S3_.num_agpr, 0
	.set _Z16histogram_kernelILj6ELj32ELj18ELN6hipcub23BlockHistogramAlgorithmE1EhEvPT3_S3_.numbered_sgpr, 39
	.set _Z16histogram_kernelILj6ELj32ELj18ELN6hipcub23BlockHistogramAlgorithmE1EhEvPT3_S3_.num_named_barrier, 0
	.set _Z16histogram_kernelILj6ELj32ELj18ELN6hipcub23BlockHistogramAlgorithmE1EhEvPT3_S3_.private_seg_size, 0
	.set _Z16histogram_kernelILj6ELj32ELj18ELN6hipcub23BlockHistogramAlgorithmE1EhEvPT3_S3_.uses_vcc, 1
	.set _Z16histogram_kernelILj6ELj32ELj18ELN6hipcub23BlockHistogramAlgorithmE1EhEvPT3_S3_.uses_flat_scratch, 0
	.set _Z16histogram_kernelILj6ELj32ELj18ELN6hipcub23BlockHistogramAlgorithmE1EhEvPT3_S3_.has_dyn_sized_stack, 0
	.set _Z16histogram_kernelILj6ELj32ELj18ELN6hipcub23BlockHistogramAlgorithmE1EhEvPT3_S3_.has_recursion, 0
	.set _Z16histogram_kernelILj6ELj32ELj18ELN6hipcub23BlockHistogramAlgorithmE1EhEvPT3_S3_.has_indirect_call, 0
	.section	.AMDGPU.csdata,"",@progbits
; Kernel info:
; codeLenInByte = 7728
; TotalNumSgprs: 43
; NumVgprs: 124
; ScratchSize: 0
; MemoryBound: 0
; FloatMode: 240
; IeeeMode: 1
; LDSByteSize: 226 bytes/workgroup (compile time only)
; SGPRBlocks: 5
; VGPRBlocks: 30
; NumSGPRsForWavesPerEU: 43
; NumVGPRsForWavesPerEU: 124
; Occupancy: 2
; WaveLimiterHint : 0
; COMPUTE_PGM_RSRC2:SCRATCH_EN: 0
; COMPUTE_PGM_RSRC2:USER_SGPR: 6
; COMPUTE_PGM_RSRC2:TRAP_HANDLER: 0
; COMPUTE_PGM_RSRC2:TGID_X_EN: 1
; COMPUTE_PGM_RSRC2:TGID_Y_EN: 0
; COMPUTE_PGM_RSRC2:TGID_Z_EN: 0
; COMPUTE_PGM_RSRC2:TIDIG_COMP_CNT: 0
	.section	.text._Z16histogram_kernelILj255ELj15ELj255ELN6hipcub23BlockHistogramAlgorithmE1EjEvPT3_S3_,"axG",@progbits,_Z16histogram_kernelILj255ELj15ELj255ELN6hipcub23BlockHistogramAlgorithmE1EjEvPT3_S3_,comdat
	.protected	_Z16histogram_kernelILj255ELj15ELj255ELN6hipcub23BlockHistogramAlgorithmE1EjEvPT3_S3_ ; -- Begin function _Z16histogram_kernelILj255ELj15ELj255ELN6hipcub23BlockHistogramAlgorithmE1EjEvPT3_S3_
	.globl	_Z16histogram_kernelILj255ELj15ELj255ELN6hipcub23BlockHistogramAlgorithmE1EjEvPT3_S3_
	.p2align	8
	.type	_Z16histogram_kernelILj255ELj15ELj255ELN6hipcub23BlockHistogramAlgorithmE1EjEvPT3_S3_,@function
_Z16histogram_kernelILj255ELj15ELj255ELN6hipcub23BlockHistogramAlgorithmE1EjEvPT3_S3_: ; @_Z16histogram_kernelILj255ELj15ELj255ELN6hipcub23BlockHistogramAlgorithmE1EjEvPT3_S3_
; %bb.0:
	s_mulk_i32 s6, 0xff
	v_add_u32_e32 v9, s6, v0
	v_mul_lo_u32 v10, v9, 15
	s_load_dwordx4 s[36:39], s[4:5], 0x0
	v_mov_b32_e32 v11, 0
	s_movk_i32 s33, 0xff
	v_lshlrev_b64 v[1:2], 2, v[10:11]
	v_cmp_gt_u32_e64 s[0:1], s33, v0
	s_waitcnt lgkmcnt(0)
	v_mov_b32_e32 v3, s37
	v_add_co_u32_e32 v12, vcc, s36, v1
	v_addc_co_u32_e32 v13, vcc, v3, v2, vcc
	v_add_u32_e32 v1, 1, v10
	v_mov_b32_e32 v2, v11
	v_lshlrev_b64 v[1:2], 2, v[1:2]
	v_add_co_u32_e32 v14, vcc, s36, v1
	v_addc_co_u32_e32 v15, vcc, v3, v2, vcc
	v_add_u32_e32 v1, 2, v10
	v_mov_b32_e32 v2, v11
	v_lshlrev_b64 v[1:2], 2, v[1:2]
	;; [unrolled: 5-line block ×7, first 2 shown]
	v_add_co_u32_e32 v26, vcc, s36, v1
	v_addc_co_u32_e32 v27, vcc, v3, v2, vcc
	global_load_dword v1, v[12:13], off
	global_load_dword v2, v[14:15], off
	;; [unrolled: 1-line block ×8, first 2 shown]
	v_add_u32_e32 v12, 8, v10
	v_mov_b32_e32 v13, v11
	v_lshlrev_b64 v[12:13], 2, v[12:13]
	v_mov_b32_e32 v14, s37
	v_add_co_u32_e32 v18, vcc, s36, v12
	v_addc_co_u32_e32 v19, vcc, v14, v13, vcc
	v_add_u32_e32 v12, 9, v10
	v_mov_b32_e32 v13, v11
	v_lshlrev_b64 v[12:13], 2, v[12:13]
	v_add_co_u32_e32 v20, vcc, s36, v12
	v_addc_co_u32_e32 v21, vcc, v14, v13, vcc
	v_add_u32_e32 v12, 10, v10
	v_mov_b32_e32 v13, v11
	v_lshlrev_b64 v[12:13], 2, v[12:13]
	;; [unrolled: 5-line block ×5, first 2 shown]
	v_add_u32_e32 v10, 14, v10
	v_add_co_u32_e32 v28, vcc, s36, v12
	v_addc_co_u32_e32 v29, vcc, v14, v13, vcc
	v_lshlrev_b64 v[12:13], 2, v[10:11]
	v_mov_b32_e32 v10, s37
	v_add_co_u32_e32 v30, vcc, s36, v12
	v_addc_co_u32_e32 v31, vcc, v10, v13, vcc
	global_load_dword v12, v[18:19], off
	global_load_dword v13, v[20:21], off
	;; [unrolled: 1-line block ×7, first 2 shown]
	v_lshlrev_b32_e32 v18, 2, v0
	s_and_saveexec_b64 s[2:3], s[0:1]
; %bb.1:
	v_mov_b32_e32 v10, 0
	ds_write_b32 v18, v10 offset:15312
; %bb.2:
	s_or_b64 exec, exec, s[2:3]
	v_mbcnt_lo_u32_b32 v19, -1, 0
	v_mbcnt_hi_u32_b32 v19, -1, v19
	v_and_b32_e32 v20, 15, v19
	v_cmp_eq_u32_e64 s[2:3], 0, v20
	v_cmp_lt_u32_e64 s[4:5], 1, v20
	v_cmp_lt_u32_e64 s[6:7], 3, v20
	;; [unrolled: 1-line block ×3, first 2 shown]
	v_and_b32_e32 v20, 16, v19
	v_cmp_eq_u32_e64 s[10:11], 0, v20
	v_and_b32_e32 v20, 0xc0, v0
	v_min_u32_e32 v20, 0xbf, v20
	v_add_u32_e32 v20, 63, v20
	v_cmp_eq_u32_e64 s[14:15], v0, v20
	v_subrev_co_u32_e64 v20, s[20:21], 1, v19
	v_and_b32_e32 v21, 64, v19
	v_lshlrev_b32_e32 v10, 5, v0
	v_cmp_lt_i32_e32 vcc, v20, v21
	s_movk_i32 s22, 0xffe4
	v_cmp_lt_u32_e64 s[12:13], 31, v19
	v_cndmask_b32_e32 v20, v20, v19, vcc
	v_lshrrev_b32_e32 v21, 4, v0
	v_mad_i32_i24 v23, v0, s22, v10
	v_and_b32_e32 v19, 3, v19
	v_and_b32_e32 v22, 12, v21
	v_cmp_eq_u32_e64 s[22:23], 0, v19
	v_cmp_lt_u32_e64 s[24:25], 1, v19
	v_mad_u32_u24 v19, v0, 56, v23
	v_mul_i32_i24_e32 v21, 0xffffffc8, v0
	s_movk_i32 s26, 0x3fc
	s_movk_i32 s28, 0x2fd
	;; [unrolled: 1-line block ×3, first 2 shown]
	v_add_u32_e32 v28, v19, v21
	v_cmp_gt_u32_e64 s[16:17], 4, v0
	v_cmp_lt_u32_e64 s[18:19], 63, v0
	v_lshlrev_b32_e32 v20, 2, v20
	v_cmp_gt_u32_e64 s[26:27], s26, v0
	v_cmp_gt_u32_e64 s[28:29], s28, v0
	;; [unrolled: 1-line block ×3, first 2 shown]
	v_add_u32_e32 v30, 0x7f8, v28
	v_mov_b32_e32 v31, 0
	s_waitcnt vmcnt(0) lgkmcnt(0)
	s_barrier
	s_branch .LBB10_4
.LBB10_3:                               ;   in Loop: Header=BB10_4 Depth=1
	s_andn2_b64 vcc, exec, s[34:35]
	s_cbranch_vccz .LBB10_17
.LBB10_4:                               ; =>This Inner Loop Header: Depth=1
	v_mov_b32_e32 v21, v54
	v_mov_b32_e32 v24, v17
	v_mov_b32_e32 v25, v16
	v_mov_b32_e32 v26, v15
	v_mov_b32_e32 v27, v14
	v_mov_b32_e32 v29, v13
	v_mov_b32_e32 v32, v12
	v_mov_b32_e32 v33, v8
	v_mov_b32_e32 v34, v7
	v_mov_b32_e32 v35, v6
	v_mov_b32_e32 v36, v5
	v_mov_b32_e32 v37, v4
	v_mov_b32_e32 v38, v3
	v_mov_b32_e32 v39, v2
	v_mov_b32_e32 v40, v1
	ds_write2_b32 v28, v11, v11 offset1:255
	ds_write2_b32 v30, v11, v11 offset1:255
	s_and_saveexec_b64 s[34:35], s[26:27]
	s_cbranch_execz .LBB10_9
; %bb.5:                                ;   in Loop: Header=BB10_4 Depth=1
	ds_write_b32 v28, v11 offset:4080
	s_and_b64 exec, exec, s[28:29]
	s_cbranch_execz .LBB10_9
; %bb.6:                                ;   in Loop: Header=BB10_4 Depth=1
	ds_write_b32 v28, v11 offset:5100
	s_and_b64 exec, exec, s[30:31]
	;; [unrolled: 4-line block ×3, first 2 shown]
; %bb.8:                                ;   in Loop: Header=BB10_4 Depth=1
	ds_write_b32 v28, v11 offset:7140
.LBB10_9:                               ;   in Loop: Header=BB10_4 Depth=1
	s_or_b64 exec, exec, s[34:35]
	v_lshrrev_b32_e32 v1, v31, v40
	v_bfe_u32 v2, v40, v31, 3
	v_lshrrev_b32_e32 v1, 2, v1
	v_mad_u32_u24 v2, v2, s33, v0
	v_and_b32_e32 v1, 2, v1
	v_lshl_or_b32 v14, v2, 2, v1
	ds_read_u16 v12, v14
	v_lshrrev_b32_e32 v1, v31, v39
	v_bfe_u32 v2, v39, v31, 3
	v_lshrrev_b32_e32 v1, 2, v1
	v_mad_u32_u24 v2, v2, s33, v0
	s_waitcnt lgkmcnt(0)
	v_add_u16_e32 v3, 1, v12
	v_and_b32_e32 v1, 2, v1
	ds_write_b16 v14, v3
	v_lshl_or_b32 v16, v2, 2, v1
	ds_read_u16 v13, v16
	v_bfe_u32 v2, v38, v31, 3
	v_mad_u32_u24 v2, v2, s33, v0
	s_waitcnt lgkmcnt(0)
	v_add_u16_e32 v1, 1, v13
	ds_write_b16 v16, v1
	v_lshrrev_b32_e32 v1, v31, v38
	v_lshrrev_b32_e32 v1, 2, v1
	v_and_b32_e32 v1, 2, v1
	v_lshl_or_b32 v41, v2, 2, v1
	ds_read_u16 v15, v41
	v_bfe_u32 v2, v37, v31, 3
	v_mad_u32_u24 v2, v2, s33, v0
	s_waitcnt lgkmcnt(0)
	v_add_u16_e32 v1, 1, v15
	ds_write_b16 v41, v1
	v_lshrrev_b32_e32 v1, v31, v37
	v_lshrrev_b32_e32 v1, 2, v1
	v_and_b32_e32 v1, 2, v1
	;; [unrolled: 10-line block ×13, first 2 shown]
	v_lshl_or_b32 v65, v2, 2, v1
	ds_read_u16 v64, v65
	s_waitcnt lgkmcnt(0)
	v_add_u16_e32 v1, 1, v64
	ds_write_b16 v65, v1
	s_waitcnt lgkmcnt(0)
	s_barrier
	ds_read2_b64 v[5:8], v10 offset1:1
	ds_read2_b64 v[1:4], v10 offset0:2 offset1:3
	s_waitcnt lgkmcnt(1)
	v_add_u32_e32 v55, v6, v5
	v_add3_u32 v55, v55, v7, v8
	s_waitcnt lgkmcnt(0)
	v_add3_u32 v55, v55, v1, v2
	v_add3_u32 v4, v55, v3, v4
	s_nop 1
	v_mov_b32_dpp v55, v4 row_shr:1 row_mask:0xf bank_mask:0xf
	v_cndmask_b32_e64 v55, v55, 0, s[2:3]
	v_add_u32_e32 v4, v55, v4
	s_nop 1
	v_mov_b32_dpp v55, v4 row_shr:2 row_mask:0xf bank_mask:0xf
	v_cndmask_b32_e64 v55, 0, v55, s[4:5]
	v_add_u32_e32 v4, v4, v55
	;; [unrolled: 4-line block ×4, first 2 shown]
	s_nop 1
	v_mov_b32_dpp v55, v4 row_bcast:15 row_mask:0xf bank_mask:0xf
	v_cndmask_b32_e64 v55, v55, 0, s[10:11]
	v_add_u32_e32 v4, v4, v55
	s_nop 1
	v_mov_b32_dpp v55, v4 row_bcast:31 row_mask:0xf bank_mask:0xf
	v_cndmask_b32_e64 v55, 0, v55, s[12:13]
	v_add_u32_e32 v4, v4, v55
	s_and_saveexec_b64 s[34:35], s[14:15]
; %bb.10:                               ;   in Loop: Header=BB10_4 Depth=1
	ds_write_b32 v22, v4 offset:8160
; %bb.11:                               ;   in Loop: Header=BB10_4 Depth=1
	s_or_b64 exec, exec, s[34:35]
	s_waitcnt lgkmcnt(0)
	s_barrier
	s_and_saveexec_b64 s[34:35], s[16:17]
	s_cbranch_execz .LBB10_13
; %bb.12:                               ;   in Loop: Header=BB10_4 Depth=1
	ds_read_b32 v55, v23 offset:8160
	s_waitcnt lgkmcnt(0)
	s_nop 0
	v_mov_b32_dpp v66, v55 row_shr:1 row_mask:0xf bank_mask:0xf
	v_cndmask_b32_e64 v66, v66, 0, s[22:23]
	v_add_u32_e32 v55, v66, v55
	s_nop 1
	v_mov_b32_dpp v66, v55 row_shr:2 row_mask:0xf bank_mask:0xf
	v_cndmask_b32_e64 v66, 0, v66, s[24:25]
	v_add_u32_e32 v55, v55, v66
	ds_write_b32 v23, v55 offset:8160
.LBB10_13:                              ;   in Loop: Header=BB10_4 Depth=1
	s_or_b64 exec, exec, s[34:35]
	v_mov_b32_e32 v55, 0
	s_waitcnt lgkmcnt(0)
	s_barrier
	s_and_saveexec_b64 s[34:35], s[18:19]
; %bb.14:                               ;   in Loop: Header=BB10_4 Depth=1
	ds_read_b32 v55, v22 offset:8156
; %bb.15:                               ;   in Loop: Header=BB10_4 Depth=1
	s_or_b64 exec, exec, s[34:35]
	s_waitcnt lgkmcnt(0)
	v_add_u32_e32 v4, v55, v4
	ds_bpermute_b32 v4, v20, v4
	ds_read_b32 v66, v11 offset:8172
	v_cmp_lt_u32_e32 vcc, 27, v31
	s_and_b64 vcc, exec, vcc
	s_mov_b64 s[34:35], -1
	s_waitcnt lgkmcnt(1)
	v_cndmask_b32_e64 v4, v4, v55, s[20:21]
	s_waitcnt lgkmcnt(0)
	v_lshl_add_u32 v4, v66, 16, v4
	v_add_u32_e32 v5, v4, v5
	v_add_u32_e32 v6, v5, v6
	;; [unrolled: 1-line block ×7, first 2 shown]
	ds_write2_b64 v10, v[4:5], v[6:7] offset1:1
	ds_write2_b64 v10, v[66:67], v[1:2] offset0:2 offset1:3
	s_waitcnt lgkmcnt(0)
	s_barrier
	ds_read_u16 v1, v14
	ds_read_u16 v2, v16
	;; [unrolled: 1-line block ×8, first 2 shown]
	s_waitcnt lgkmcnt(7)
	v_add_u32_sdwa v55, v1, v12 dst_sel:DWORD dst_unused:UNUSED_PAD src0_sel:DWORD src1_sel:WORD_0
	s_waitcnt lgkmcnt(6)
	v_add_u32_sdwa v52, v2, v13 dst_sel:DWORD dst_unused:UNUSED_PAD src0_sel:DWORD src1_sel:WORD_0
	;; [unrolled: 2-line block ×7, first 2 shown]
	ds_read_u16 v1, v53
	ds_read_u16 v2, v56
	;; [unrolled: 1-line block ×7, first 2 shown]
	s_waitcnt lgkmcnt(7)
	v_add_u32_sdwa v41, v8, v50 dst_sel:DWORD dst_unused:UNUSED_PAD src0_sel:DWORD src1_sel:WORD_0
	s_waitcnt lgkmcnt(6)
	v_add_u32_sdwa v56, v1, v48 dst_sel:DWORD dst_unused:UNUSED_PAD src0_sel:DWORD src1_sel:WORD_0
	;; [unrolled: 2-line block ×8, first 2 shown]
                                        ; implicit-def: $vgpr54
                                        ; implicit-def: $vgpr17
                                        ; implicit-def: $vgpr15
                                        ; implicit-def: $vgpr13
                                        ; implicit-def: $vgpr8
                                        ; implicit-def: $vgpr6
                                        ; implicit-def: $vgpr4
                                        ; implicit-def: $vgpr2
	s_cbranch_vccnz .LBB10_3
; %bb.16:                               ;   in Loop: Header=BB10_4 Depth=1
	v_lshlrev_b32_e32 v1, 2, v55
	s_barrier
	ds_write_b32 v1, v40
	v_lshlrev_b32_e32 v1, 2, v52
	ds_write_b32 v1, v39
	v_lshlrev_b32_e32 v1, 2, v49
	;; [unrolled: 2-line block ×14, first 2 shown]
	ds_write_b32 v1, v21
	s_waitcnt lgkmcnt(0)
	s_barrier
	ds_read2_b32 v[1:2], v19 offset1:1
	ds_read2_b32 v[3:4], v19 offset0:2 offset1:3
	ds_read2_b32 v[5:6], v19 offset0:4 offset1:5
	;; [unrolled: 1-line block ×6, first 2 shown]
	ds_read_b32 v54, v19 offset:56
	v_add_u32_e32 v31, 4, v31
	s_mov_b64 s[34:35], 0
	s_waitcnt lgkmcnt(0)
	s_barrier
	s_branch .LBB10_3
.LBB10_17:
	v_lshlrev_b32_e32 v1, 2, v55
	s_barrier
	ds_write_b32 v1, v40
	v_lshlrev_b32_e32 v1, 2, v52
	ds_write_b32 v1, v39
	v_lshlrev_b32_e32 v1, 2, v49
	;; [unrolled: 2-line block ×14, first 2 shown]
	ds_write_b32 v1, v21
	s_waitcnt lgkmcnt(0)
	s_barrier
	ds_read2_b32 v[1:2], v19 offset1:1
	ds_read2_b32 v[3:4], v19 offset0:2 offset1:3
	ds_read2_b32 v[5:6], v19 offset0:4 offset1:5
	;; [unrolled: 1-line block ×6, first 2 shown]
	ds_read_b32 v17, v19 offset:56
	s_waitcnt lgkmcnt(0)
	s_barrier
	s_and_saveexec_b64 s[2:3], s[0:1]
; %bb.18:
	v_mov_b32_e32 v16, 0xef1
	v_add_u32_e32 v19, 0x7f8, v18
	ds_write2_b32 v19, v16, v16 offset1:255
; %bb.19:
	s_or_b64 exec, exec, s[2:3]
	v_mul_u32_u24_e32 v16, 15, v0
	v_cmp_ne_u32_e32 vcc, v15, v17
	v_lshlrev_b32_e32 v19, 2, v15
	s_waitcnt lgkmcnt(0)
	s_barrier
	ds_write_b32 v18, v17
	s_and_saveexec_b64 s[2:3], vcc
	s_cbranch_execz .LBB10_21
; %bb.20:
	v_lshlrev_b32_e32 v17, 2, v17
	v_add_u32_e32 v20, 14, v16
	ds_write_b32 v17, v20 offset:2040
	ds_write_b32 v19, v20 offset:3060
.LBB10_21:
	s_or_b64 exec, exec, s[2:3]
	v_cmp_ne_u32_e32 vcc, v14, v15
	v_lshlrev_b32_e32 v15, 2, v14
	s_and_saveexec_b64 s[2:3], vcc
	s_cbranch_execz .LBB10_23
; %bb.22:
	v_add_u32_e32 v17, 13, v16
	ds_write_b32 v19, v17 offset:2040
	ds_write_b32 v15, v17 offset:3060
.LBB10_23:
	s_or_b64 exec, exec, s[2:3]
	v_cmp_ne_u32_e32 vcc, v13, v14
	v_lshlrev_b32_e32 v14, 2, v13
	s_and_saveexec_b64 s[2:3], vcc
	s_cbranch_execz .LBB10_25
; %bb.24:
	v_add_u32_e32 v17, 12, v16
	ds_write_b32 v15, v17 offset:2040
	ds_write_b32 v14, v17 offset:3060
.LBB10_25:
	;; [unrolled: 10-line block ×13, first 2 shown]
	s_or_b64 exec, exec, s[2:3]
	v_cmp_eq_u32_e32 vcc, 0, v0
	v_cmp_ne_u32_e64 s[2:3], 0, v0
	s_waitcnt lgkmcnt(0)
	s_barrier
	s_and_saveexec_b64 s[4:5], s[2:3]
	s_cbranch_execz .LBB10_50
; %bb.48:
	v_add_u32_e32 v0, -4, v18
	ds_read_b32 v3, v0
	s_waitcnt lgkmcnt(0)
	v_cmp_ne_u32_e64 s[2:3], v3, v1
	s_and_b64 exec, exec, s[2:3]
	s_cbranch_execz .LBB10_50
; %bb.49:
	ds_write_b32 v2, v16 offset:2040
	ds_read_b32 v0, v0
	s_waitcnt lgkmcnt(0)
	v_lshlrev_b32_e32 v0, 2, v0
	ds_write_b32 v0, v16 offset:3060
.LBB10_50:
	s_or_b64 exec, exec, s[4:5]
	s_waitcnt lgkmcnt(0)
	s_barrier
	s_and_saveexec_b64 s[2:3], vcc
; %bb.51:
	v_mov_b32_e32 v0, 0
	ds_write_b32 v2, v0 offset:2040
; %bb.52:
	s_or_b64 exec, exec, s[2:3]
	s_waitcnt lgkmcnt(0)
	s_barrier
	s_and_saveexec_b64 s[2:3], s[0:1]
	s_cbranch_execz .LBB10_54
; %bb.53:
	v_add_u32_e32 v0, 0x7f8, v18
	ds_read2_b32 v[0:1], v0 offset1:255
	ds_read_b32 v2, v18 offset:15312
	s_waitcnt lgkmcnt(1)
	v_sub_u32_e32 v0, v1, v0
	s_waitcnt lgkmcnt(0)
	v_add_u32_e32 v0, v0, v2
	ds_write_b32 v18, v0 offset:15312
.LBB10_54:
	s_or_b64 exec, exec, s[2:3]
	s_waitcnt lgkmcnt(0)
	s_barrier
	s_and_saveexec_b64 s[2:3], s[0:1]
	s_cbranch_execz .LBB10_56
; %bb.55:
	v_mov_b32_e32 v10, 0
	ds_read_b32 v3, v18 offset:15312
	v_lshlrev_b64 v[0:1], 2, v[9:10]
	v_mov_b32_e32 v2, s39
	v_add_co_u32_e32 v0, vcc, s38, v0
	v_addc_co_u32_e32 v1, vcc, v2, v1, vcc
	s_waitcnt lgkmcnt(0)
	global_store_dword v[0:1], v3, off
.LBB10_56:
	s_endpgm
	.section	.rodata,"a",@progbits
	.p2align	6, 0x0
	.amdhsa_kernel _Z16histogram_kernelILj255ELj15ELj255ELN6hipcub23BlockHistogramAlgorithmE1EjEvPT3_S3_
		.amdhsa_group_segment_fixed_size 16332
		.amdhsa_private_segment_fixed_size 0
		.amdhsa_kernarg_size 16
		.amdhsa_user_sgpr_count 6
		.amdhsa_user_sgpr_private_segment_buffer 1
		.amdhsa_user_sgpr_dispatch_ptr 0
		.amdhsa_user_sgpr_queue_ptr 0
		.amdhsa_user_sgpr_kernarg_segment_ptr 1
		.amdhsa_user_sgpr_dispatch_id 0
		.amdhsa_user_sgpr_flat_scratch_init 0
		.amdhsa_user_sgpr_private_segment_size 0
		.amdhsa_uses_dynamic_stack 0
		.amdhsa_system_sgpr_private_segment_wavefront_offset 0
		.amdhsa_system_sgpr_workgroup_id_x 1
		.amdhsa_system_sgpr_workgroup_id_y 0
		.amdhsa_system_sgpr_workgroup_id_z 0
		.amdhsa_system_sgpr_workgroup_info 0
		.amdhsa_system_vgpr_workitem_id 0
		.amdhsa_next_free_vgpr 68
		.amdhsa_next_free_sgpr 98
		.amdhsa_reserve_vcc 1
		.amdhsa_reserve_flat_scratch 0
		.amdhsa_float_round_mode_32 0
		.amdhsa_float_round_mode_16_64 0
		.amdhsa_float_denorm_mode_32 3
		.amdhsa_float_denorm_mode_16_64 3
		.amdhsa_dx10_clamp 1
		.amdhsa_ieee_mode 1
		.amdhsa_fp16_overflow 0
		.amdhsa_exception_fp_ieee_invalid_op 0
		.amdhsa_exception_fp_denorm_src 0
		.amdhsa_exception_fp_ieee_div_zero 0
		.amdhsa_exception_fp_ieee_overflow 0
		.amdhsa_exception_fp_ieee_underflow 0
		.amdhsa_exception_fp_ieee_inexact 0
		.amdhsa_exception_int_div_zero 0
	.end_amdhsa_kernel
	.section	.text._Z16histogram_kernelILj255ELj15ELj255ELN6hipcub23BlockHistogramAlgorithmE1EjEvPT3_S3_,"axG",@progbits,_Z16histogram_kernelILj255ELj15ELj255ELN6hipcub23BlockHistogramAlgorithmE1EjEvPT3_S3_,comdat
.Lfunc_end10:
	.size	_Z16histogram_kernelILj255ELj15ELj255ELN6hipcub23BlockHistogramAlgorithmE1EjEvPT3_S3_, .Lfunc_end10-_Z16histogram_kernelILj255ELj15ELj255ELN6hipcub23BlockHistogramAlgorithmE1EjEvPT3_S3_
                                        ; -- End function
	.set _Z16histogram_kernelILj255ELj15ELj255ELN6hipcub23BlockHistogramAlgorithmE1EjEvPT3_S3_.num_vgpr, 68
	.set _Z16histogram_kernelILj255ELj15ELj255ELN6hipcub23BlockHistogramAlgorithmE1EjEvPT3_S3_.num_agpr, 0
	.set _Z16histogram_kernelILj255ELj15ELj255ELN6hipcub23BlockHistogramAlgorithmE1EjEvPT3_S3_.numbered_sgpr, 40
	.set _Z16histogram_kernelILj255ELj15ELj255ELN6hipcub23BlockHistogramAlgorithmE1EjEvPT3_S3_.num_named_barrier, 0
	.set _Z16histogram_kernelILj255ELj15ELj255ELN6hipcub23BlockHistogramAlgorithmE1EjEvPT3_S3_.private_seg_size, 0
	.set _Z16histogram_kernelILj255ELj15ELj255ELN6hipcub23BlockHistogramAlgorithmE1EjEvPT3_S3_.uses_vcc, 1
	.set _Z16histogram_kernelILj255ELj15ELj255ELN6hipcub23BlockHistogramAlgorithmE1EjEvPT3_S3_.uses_flat_scratch, 0
	.set _Z16histogram_kernelILj255ELj15ELj255ELN6hipcub23BlockHistogramAlgorithmE1EjEvPT3_S3_.has_dyn_sized_stack, 0
	.set _Z16histogram_kernelILj255ELj15ELj255ELN6hipcub23BlockHistogramAlgorithmE1EjEvPT3_S3_.has_recursion, 0
	.set _Z16histogram_kernelILj255ELj15ELj255ELN6hipcub23BlockHistogramAlgorithmE1EjEvPT3_S3_.has_indirect_call, 0
	.section	.AMDGPU.csdata,"",@progbits
; Kernel info:
; codeLenInByte = 4024
; TotalNumSgprs: 44
; NumVgprs: 68
; ScratchSize: 0
; MemoryBound: 0
; FloatMode: 240
; IeeeMode: 1
; LDSByteSize: 16332 bytes/workgroup (compile time only)
; SGPRBlocks: 12
; VGPRBlocks: 16
; NumSGPRsForWavesPerEU: 102
; NumVGPRsForWavesPerEU: 68
; Occupancy: 3
; WaveLimiterHint : 0
; COMPUTE_PGM_RSRC2:SCRATCH_EN: 0
; COMPUTE_PGM_RSRC2:USER_SGPR: 6
; COMPUTE_PGM_RSRC2:TRAP_HANDLER: 0
; COMPUTE_PGM_RSRC2:TGID_X_EN: 1
; COMPUTE_PGM_RSRC2:TGID_Y_EN: 0
; COMPUTE_PGM_RSRC2:TGID_Z_EN: 0
; COMPUTE_PGM_RSRC2:TIDIG_COMP_CNT: 0
	.section	.text._Z16histogram_kernelILj162ELj7ELj162ELN6hipcub23BlockHistogramAlgorithmE1EjEvPT3_S3_,"axG",@progbits,_Z16histogram_kernelILj162ELj7ELj162ELN6hipcub23BlockHistogramAlgorithmE1EjEvPT3_S3_,comdat
	.protected	_Z16histogram_kernelILj162ELj7ELj162ELN6hipcub23BlockHistogramAlgorithmE1EjEvPT3_S3_ ; -- Begin function _Z16histogram_kernelILj162ELj7ELj162ELN6hipcub23BlockHistogramAlgorithmE1EjEvPT3_S3_
	.globl	_Z16histogram_kernelILj162ELj7ELj162ELN6hipcub23BlockHistogramAlgorithmE1EjEvPT3_S3_
	.p2align	8
	.type	_Z16histogram_kernelILj162ELj7ELj162ELN6hipcub23BlockHistogramAlgorithmE1EjEvPT3_S3_,@function
_Z16histogram_kernelILj162ELj7ELj162ELN6hipcub23BlockHistogramAlgorithmE1EjEvPT3_S3_: ; @_Z16histogram_kernelILj162ELj7ELj162ELN6hipcub23BlockHistogramAlgorithmE1EjEvPT3_S3_
; %bb.0:
	s_mulk_i32 s6, 0xa2
	v_add_u32_e32 v9, s6, v0
	v_mul_lo_u32 v10, v9, 7
	s_load_dwordx4 s[36:39], s[4:5], 0x0
	v_mov_b32_e32 v11, 0
	s_movk_i32 s33, 0xa2
	v_lshlrev_b64 v[1:2], 2, v[10:11]
	v_cmp_gt_u32_e64 s[0:1], s33, v0
	s_waitcnt lgkmcnt(0)
	v_mov_b32_e32 v3, s37
	v_add_co_u32_e32 v12, vcc, s36, v1
	v_addc_co_u32_e32 v13, vcc, v3, v2, vcc
	v_add_u32_e32 v1, 1, v10
	v_mov_b32_e32 v2, v11
	v_lshlrev_b64 v[1:2], 2, v[1:2]
	v_add_co_u32_e32 v14, vcc, s36, v1
	v_addc_co_u32_e32 v15, vcc, v3, v2, vcc
	v_add_u32_e32 v1, 2, v10
	v_mov_b32_e32 v2, v11
	v_lshlrev_b64 v[1:2], 2, v[1:2]
	;; [unrolled: 5-line block ×5, first 2 shown]
	v_add_u32_e32 v10, 6, v10
	v_add_co_u32_e32 v22, vcc, s36, v1
	v_addc_co_u32_e32 v23, vcc, v3, v2, vcc
	v_lshlrev_b64 v[1:2], 2, v[10:11]
	v_add_co_u32_e32 v24, vcc, s36, v1
	v_addc_co_u32_e32 v25, vcc, v3, v2, vcc
	global_load_dword v1, v[12:13], off
	global_load_dword v2, v[14:15], off
	;; [unrolled: 1-line block ×7, first 2 shown]
	v_lshlrev_b32_e32 v12, 2, v0
	s_and_saveexec_b64 s[2:3], s[0:1]
; %bb.1:
	v_mov_b32_e32 v8, 0
	ds_write_b32 v12, v8 offset:5200
; %bb.2:
	s_or_b64 exec, exec, s[2:3]
	v_mbcnt_lo_u32_b32 v8, -1, 0
	v_mbcnt_hi_u32_b32 v8, -1, v8
	v_and_b32_e32 v13, 15, v8
	v_cmp_eq_u32_e64 s[2:3], 0, v13
	v_cmp_lt_u32_e64 s[4:5], 1, v13
	v_cmp_lt_u32_e64 s[6:7], 3, v13
	;; [unrolled: 1-line block ×3, first 2 shown]
	v_and_b32_e32 v13, 16, v8
	v_cmp_eq_u32_e64 s[10:11], 0, v13
	v_and_b32_e32 v13, 0xc0, v0
	v_min_u32_e32 v13, 0x62, v13
	v_add_u32_e32 v13, 63, v13
	v_cmp_eq_u32_e64 s[14:15], v0, v13
	v_subrev_co_u32_e64 v13, s[20:21], 1, v8
	v_and_b32_e32 v14, 64, v8
	v_cmp_lt_i32_e32 vcc, v13, v14
	v_lshlrev_b32_e32 v10, 5, v0
	v_cndmask_b32_e32 v13, v13, v8, vcc
	s_movk_i32 s22, 0xffe4
	v_cmp_lt_u32_e64 s[12:13], 31, v8
	v_lshlrev_b32_e32 v14, 2, v13
	v_lshrrev_b32_e32 v13, 4, v0
	v_mad_i32_i24 v16, v0, s22, v10
	v_and_b32_e32 v8, 3, v8
	v_and_b32_e32 v15, 12, v13
	v_cmp_eq_u32_e64 s[22:23], 0, v8
	v_cmp_lt_u32_e64 s[24:25], 1, v8
	v_mad_u32_u24 v13, v0, 24, v16
	v_mul_i32_i24_e32 v8, 0xffffffe8, v0
	s_movk_i32 s26, 0x3cc
	s_movk_i32 s28, 0x32a
	s_movk_i32 s30, 0x288
	s_movk_i32 s34, 0x1e6
	s_movk_i32 s36, 0x144
	v_cmp_gt_u32_e64 s[16:17], 3, v0
	v_cmp_lt_u32_e64 s[18:19], 63, v0
	v_cmp_gt_u32_e64 s[26:27], s26, v0
	v_cmp_gt_u32_e64 s[28:29], s28, v0
	;; [unrolled: 1-line block ×5, first 2 shown]
	v_add_u32_e32 v20, v13, v8
	v_mov_b32_e32 v21, 0
	s_waitcnt vmcnt(0) lgkmcnt(0)
	s_barrier
	s_branch .LBB11_4
.LBB11_3:                               ;   in Loop: Header=BB11_4 Depth=1
	s_andn2_b64 vcc, exec, s[40:41]
	s_cbranch_vccz .LBB11_19
.LBB11_4:                               ; =>This Inner Loop Header: Depth=1
	v_mov_b32_e32 v17, v7
	v_mov_b32_e32 v18, v6
	;; [unrolled: 1-line block ×7, first 2 shown]
	ds_write2_b32 v20, v11, v11 offset1:162
	s_and_saveexec_b64 s[40:41], s[26:27]
	s_cbranch_execz .LBB11_11
; %bb.5:                                ;   in Loop: Header=BB11_4 Depth=1
	ds_write_b32 v20, v11 offset:1296
	s_and_b64 exec, exec, s[28:29]
	s_cbranch_execz .LBB11_11
; %bb.6:                                ;   in Loop: Header=BB11_4 Depth=1
	ds_write_b32 v20, v11 offset:1944
	s_and_b64 exec, exec, s[30:31]
	s_cbranch_execz .LBB11_11
; %bb.7:                                ;   in Loop: Header=BB11_4 Depth=1
	ds_write_b32 v20, v11 offset:2592
	s_and_b64 exec, exec, s[34:35]
	s_cbranch_execz .LBB11_11
; %bb.8:                                ;   in Loop: Header=BB11_4 Depth=1
	ds_write_b32 v20, v11 offset:3240
	s_and_b64 exec, exec, s[36:37]
	s_cbranch_execz .LBB11_11
; %bb.9:                                ;   in Loop: Header=BB11_4 Depth=1
	ds_write_b32 v20, v11 offset:3888
	s_and_b64 exec, exec, s[0:1]
; %bb.10:                               ;   in Loop: Header=BB11_4 Depth=1
	ds_write_b32 v20, v11 offset:4536
.LBB11_11:                              ;   in Loop: Header=BB11_4 Depth=1
	s_or_b64 exec, exec, s[40:41]
	v_lshrrev_b32_e32 v1, v21, v25
	v_bfe_u32 v2, v25, v21, 3
	v_lshrrev_b32_e32 v1, 2, v1
	v_mad_u32_u24 v2, v2, s33, v0
	v_and_b32_e32 v1, 2, v1
	v_lshl_or_b32 v28, v2, 2, v1
	ds_read_u16 v26, v28
	v_lshrrev_b32_e32 v1, v21, v24
	v_bfe_u32 v2, v24, v21, 3
	v_lshrrev_b32_e32 v1, 2, v1
	v_mad_u32_u24 v2, v2, s33, v0
	s_waitcnt lgkmcnt(0)
	v_add_u16_e32 v3, 1, v26
	v_and_b32_e32 v1, 2, v1
	ds_write_b16 v28, v3
	v_lshl_or_b32 v30, v2, 2, v1
	ds_read_u16 v27, v30
	v_bfe_u32 v2, v23, v21, 3
	v_mad_u32_u24 v2, v2, s33, v0
	s_waitcnt lgkmcnt(0)
	v_add_u16_e32 v1, 1, v27
	ds_write_b16 v30, v1
	v_lshrrev_b32_e32 v1, v21, v23
	v_lshrrev_b32_e32 v1, 2, v1
	v_and_b32_e32 v1, 2, v1
	v_lshl_or_b32 v32, v2, 2, v1
	ds_read_u16 v29, v32
	v_bfe_u32 v2, v22, v21, 3
	v_mad_u32_u24 v2, v2, s33, v0
	s_waitcnt lgkmcnt(0)
	v_add_u16_e32 v1, 1, v29
	ds_write_b16 v32, v1
	v_lshrrev_b32_e32 v1, v21, v22
	v_lshrrev_b32_e32 v1, 2, v1
	v_and_b32_e32 v1, 2, v1
	;; [unrolled: 10-line block ×5, first 2 shown]
	v_lshl_or_b32 v39, v2, 2, v1
	ds_read_u16 v38, v39
	s_waitcnt lgkmcnt(0)
	v_add_u16_e32 v1, 1, v38
	ds_write_b16 v39, v1
	s_waitcnt lgkmcnt(0)
	s_barrier
	ds_read2_b64 v[5:8], v10 offset1:1
	ds_read2_b64 v[1:4], v10 offset0:2 offset1:3
	s_waitcnt lgkmcnt(1)
	v_add_u32_e32 v40, v6, v5
	v_add3_u32 v40, v40, v7, v8
	s_waitcnt lgkmcnt(0)
	v_add3_u32 v40, v40, v1, v2
	v_add3_u32 v4, v40, v3, v4
	s_nop 1
	v_mov_b32_dpp v40, v4 row_shr:1 row_mask:0xf bank_mask:0xf
	v_cndmask_b32_e64 v40, v40, 0, s[2:3]
	v_add_u32_e32 v4, v40, v4
	s_nop 1
	v_mov_b32_dpp v40, v4 row_shr:2 row_mask:0xf bank_mask:0xf
	v_cndmask_b32_e64 v40, 0, v40, s[4:5]
	v_add_u32_e32 v4, v4, v40
	s_nop 1
	v_mov_b32_dpp v40, v4 row_shr:4 row_mask:0xf bank_mask:0xf
	v_cndmask_b32_e64 v40, 0, v40, s[6:7]
	v_add_u32_e32 v4, v4, v40
	s_nop 1
	v_mov_b32_dpp v40, v4 row_shr:8 row_mask:0xf bank_mask:0xf
	v_cndmask_b32_e64 v40, 0, v40, s[8:9]
	v_add_u32_e32 v4, v4, v40
	s_nop 1
	v_mov_b32_dpp v40, v4 row_bcast:15 row_mask:0xf bank_mask:0xf
	v_cndmask_b32_e64 v40, v40, 0, s[10:11]
	v_add_u32_e32 v4, v4, v40
	s_nop 1
	v_mov_b32_dpp v40, v4 row_bcast:31 row_mask:0xf bank_mask:0xf
	v_cndmask_b32_e64 v40, 0, v40, s[12:13]
	v_add_u32_e32 v4, v4, v40
	s_and_saveexec_b64 s[40:41], s[14:15]
; %bb.12:                               ;   in Loop: Header=BB11_4 Depth=1
	ds_write_b32 v15, v4 offset:5184
; %bb.13:                               ;   in Loop: Header=BB11_4 Depth=1
	s_or_b64 exec, exec, s[40:41]
	s_waitcnt lgkmcnt(0)
	s_barrier
	s_and_saveexec_b64 s[40:41], s[16:17]
	s_cbranch_execz .LBB11_15
; %bb.14:                               ;   in Loop: Header=BB11_4 Depth=1
	ds_read_b32 v40, v16 offset:5184
	s_waitcnt lgkmcnt(0)
	s_nop 0
	v_mov_b32_dpp v41, v40 row_shr:1 row_mask:0xf bank_mask:0xf
	v_cndmask_b32_e64 v41, v41, 0, s[22:23]
	v_add_u32_e32 v40, v41, v40
	s_nop 1
	v_mov_b32_dpp v41, v40 row_shr:2 row_mask:0xf bank_mask:0xf
	v_cndmask_b32_e64 v41, 0, v41, s[24:25]
	v_add_u32_e32 v40, v40, v41
	ds_write_b32 v16, v40 offset:5184
.LBB11_15:                              ;   in Loop: Header=BB11_4 Depth=1
	s_or_b64 exec, exec, s[40:41]
	v_mov_b32_e32 v40, 0
	s_waitcnt lgkmcnt(0)
	s_barrier
	s_and_saveexec_b64 s[40:41], s[18:19]
; %bb.16:                               ;   in Loop: Header=BB11_4 Depth=1
	ds_read_b32 v40, v15 offset:5180
; %bb.17:                               ;   in Loop: Header=BB11_4 Depth=1
	s_or_b64 exec, exec, s[40:41]
	s_waitcnt lgkmcnt(0)
	v_add_u32_e32 v4, v40, v4
	ds_bpermute_b32 v4, v14, v4
	ds_read_b32 v41, v11 offset:5192
	v_cmp_lt_u32_e32 vcc, 27, v21
	s_and_b64 vcc, exec, vcc
	s_mov_b64 s[40:41], -1
	s_waitcnt lgkmcnt(1)
	v_cndmask_b32_e64 v4, v4, v40, s[20:21]
	s_waitcnt lgkmcnt(0)
	v_lshl_add_u32 v4, v41, 16, v4
	v_add_u32_e32 v5, v4, v5
	v_add_u32_e32 v6, v5, v6
	;; [unrolled: 1-line block ×7, first 2 shown]
	ds_write2_b64 v10, v[4:5], v[6:7] offset1:1
	ds_write2_b64 v10, v[40:41], v[1:2] offset0:2 offset1:3
	s_waitcnt lgkmcnt(0)
	s_barrier
	ds_read_u16 v1, v28
	ds_read_u16 v2, v30
	;; [unrolled: 1-line block ×7, first 2 shown]
	s_waitcnt lgkmcnt(6)
	v_add_u32_sdwa v32, v1, v26 dst_sel:DWORD dst_unused:UNUSED_PAD src0_sel:DWORD src1_sel:WORD_0
	s_waitcnt lgkmcnt(5)
	v_add_u32_sdwa v30, v2, v27 dst_sel:DWORD dst_unused:UNUSED_PAD src0_sel:DWORD src1_sel:WORD_0
	;; [unrolled: 2-line block ×7, first 2 shown]
                                        ; implicit-def: $vgpr7
                                        ; implicit-def: $vgpr6
                                        ; implicit-def: $vgpr4
                                        ; implicit-def: $vgpr2
	s_cbranch_vccnz .LBB11_3
; %bb.18:                               ;   in Loop: Header=BB11_4 Depth=1
	v_lshlrev_b32_e32 v1, 2, v32
	s_barrier
	ds_write_b32 v1, v25
	v_lshlrev_b32_e32 v1, 2, v30
	ds_write_b32 v1, v24
	v_lshlrev_b32_e32 v1, 2, v29
	;; [unrolled: 2-line block ×6, first 2 shown]
	ds_write_b32 v1, v17
	s_waitcnt lgkmcnt(0)
	s_barrier
	ds_read2_b32 v[1:2], v13 offset1:1
	ds_read2_b32 v[3:4], v13 offset0:2 offset1:3
	ds_read2_b32 v[5:6], v13 offset0:4 offset1:5
	ds_read_b32 v7, v13 offset:24
	v_add_u32_e32 v21, 4, v21
	s_mov_b64 s[40:41], 0
	s_waitcnt lgkmcnt(0)
	s_barrier
	s_branch .LBB11_3
.LBB11_19:
	v_lshlrev_b32_e32 v1, 2, v32
	s_barrier
	ds_write_b32 v1, v25
	v_lshlrev_b32_e32 v1, 2, v30
	ds_write_b32 v1, v24
	v_lshlrev_b32_e32 v1, 2, v29
	;; [unrolled: 2-line block ×6, first 2 shown]
	ds_write_b32 v1, v17
	s_waitcnt lgkmcnt(0)
	s_barrier
	ds_read2_b32 v[1:2], v13 offset1:1
	ds_read2_b32 v[3:4], v13 offset0:2 offset1:3
	ds_read2_b32 v[5:6], v13 offset0:4 offset1:5
	ds_read_b32 v8, v13 offset:24
	s_waitcnt lgkmcnt(0)
	s_barrier
	s_and_saveexec_b64 s[2:3], s[0:1]
; %bb.20:
	v_mov_b32_e32 v7, 0x46e
	v_add_u32_e32 v10, 0x400, v12
	ds_write2_b32 v10, v7, v7 offset0:68 offset1:230
; %bb.21:
	s_or_b64 exec, exec, s[2:3]
	v_mul_u32_u24_e32 v7, 7, v0
	v_cmp_ne_u32_e32 vcc, v6, v8
	v_lshlrev_b32_e32 v10, 2, v6
	s_waitcnt lgkmcnt(0)
	s_barrier
	ds_write_b32 v12, v8
	s_and_saveexec_b64 s[2:3], vcc
	s_cbranch_execz .LBB11_23
; %bb.22:
	v_lshlrev_b32_e32 v8, 2, v8
	v_add_u32_e32 v11, 6, v7
	ds_write_b32 v8, v11 offset:1296
	ds_write_b32 v10, v11 offset:1944
.LBB11_23:
	s_or_b64 exec, exec, s[2:3]
	v_cmp_ne_u32_e32 vcc, v5, v6
	v_lshlrev_b32_e32 v6, 2, v5
	s_and_saveexec_b64 s[2:3], vcc
	s_cbranch_execz .LBB11_25
; %bb.24:
	v_add_u32_e32 v8, 5, v7
	ds_write_b32 v10, v8 offset:1296
	ds_write_b32 v6, v8 offset:1944
.LBB11_25:
	s_or_b64 exec, exec, s[2:3]
	v_cmp_ne_u32_e32 vcc, v4, v5
	v_lshlrev_b32_e32 v5, 2, v4
	s_and_saveexec_b64 s[2:3], vcc
	s_cbranch_execz .LBB11_27
; %bb.26:
	v_add_u32_e32 v8, 4, v7
	ds_write_b32 v6, v8 offset:1296
	ds_write_b32 v5, v8 offset:1944
.LBB11_27:
	;; [unrolled: 10-line block ×5, first 2 shown]
	s_or_b64 exec, exec, s[2:3]
	v_cmp_eq_u32_e32 vcc, 0, v0
	v_cmp_ne_u32_e64 s[2:3], 0, v0
	s_waitcnt lgkmcnt(0)
	s_barrier
	s_and_saveexec_b64 s[4:5], s[2:3]
	s_cbranch_execz .LBB11_36
; %bb.34:
	v_add_u32_e32 v0, -4, v12
	ds_read_b32 v3, v0
	s_waitcnt lgkmcnt(0)
	v_cmp_ne_u32_e64 s[2:3], v3, v1
	s_and_b64 exec, exec, s[2:3]
	s_cbranch_execz .LBB11_36
; %bb.35:
	ds_write_b32 v2, v7 offset:1296
	ds_read_b32 v0, v0
	s_waitcnt lgkmcnt(0)
	v_lshlrev_b32_e32 v0, 2, v0
	ds_write_b32 v0, v7 offset:1944
.LBB11_36:
	s_or_b64 exec, exec, s[4:5]
	s_waitcnt lgkmcnt(0)
	s_barrier
	s_and_saveexec_b64 s[2:3], vcc
; %bb.37:
	v_mov_b32_e32 v0, 0
	ds_write_b32 v2, v0 offset:1296
; %bb.38:
	s_or_b64 exec, exec, s[2:3]
	s_waitcnt lgkmcnt(0)
	s_barrier
	s_and_saveexec_b64 s[2:3], s[0:1]
	s_cbranch_execz .LBB11_40
; %bb.39:
	v_add_u32_e32 v0, 0x400, v12
	ds_read2_b32 v[0:1], v0 offset0:68 offset1:230
	ds_read_b32 v2, v12 offset:5200
	s_waitcnt lgkmcnt(1)
	v_sub_u32_e32 v0, v1, v0
	s_waitcnt lgkmcnt(0)
	v_add_u32_e32 v0, v0, v2
	ds_write_b32 v12, v0 offset:5200
.LBB11_40:
	s_or_b64 exec, exec, s[2:3]
	s_waitcnt lgkmcnt(0)
	s_barrier
	s_and_saveexec_b64 s[2:3], s[0:1]
	s_cbranch_execz .LBB11_42
; %bb.41:
	v_mov_b32_e32 v10, 0
	ds_read_b32 v3, v12 offset:5200
	v_lshlrev_b64 v[0:1], 2, v[9:10]
	v_mov_b32_e32 v2, s39
	v_add_co_u32_e32 v0, vcc, s38, v0
	v_addc_co_u32_e32 v1, vcc, v2, v1, vcc
	s_waitcnt lgkmcnt(0)
	global_store_dword v[0:1], v3, off
.LBB11_42:
	s_endpgm
	.section	.rodata,"a",@progbits
	.p2align	6, 0x0
	.amdhsa_kernel _Z16histogram_kernelILj162ELj7ELj162ELN6hipcub23BlockHistogramAlgorithmE1EjEvPT3_S3_
		.amdhsa_group_segment_fixed_size 5848
		.amdhsa_private_segment_fixed_size 0
		.amdhsa_kernarg_size 16
		.amdhsa_user_sgpr_count 6
		.amdhsa_user_sgpr_private_segment_buffer 1
		.amdhsa_user_sgpr_dispatch_ptr 0
		.amdhsa_user_sgpr_queue_ptr 0
		.amdhsa_user_sgpr_kernarg_segment_ptr 1
		.amdhsa_user_sgpr_dispatch_id 0
		.amdhsa_user_sgpr_flat_scratch_init 0
		.amdhsa_user_sgpr_private_segment_size 0
		.amdhsa_uses_dynamic_stack 0
		.amdhsa_system_sgpr_private_segment_wavefront_offset 0
		.amdhsa_system_sgpr_workgroup_id_x 1
		.amdhsa_system_sgpr_workgroup_id_y 0
		.amdhsa_system_sgpr_workgroup_id_z 0
		.amdhsa_system_sgpr_workgroup_info 0
		.amdhsa_system_vgpr_workitem_id 0
		.amdhsa_next_free_vgpr 42
		.amdhsa_next_free_sgpr 61
		.amdhsa_reserve_vcc 1
		.amdhsa_reserve_flat_scratch 0
		.amdhsa_float_round_mode_32 0
		.amdhsa_float_round_mode_16_64 0
		.amdhsa_float_denorm_mode_32 3
		.amdhsa_float_denorm_mode_16_64 3
		.amdhsa_dx10_clamp 1
		.amdhsa_ieee_mode 1
		.amdhsa_fp16_overflow 0
		.amdhsa_exception_fp_ieee_invalid_op 0
		.amdhsa_exception_fp_denorm_src 0
		.amdhsa_exception_fp_ieee_div_zero 0
		.amdhsa_exception_fp_ieee_overflow 0
		.amdhsa_exception_fp_ieee_underflow 0
		.amdhsa_exception_fp_ieee_inexact 0
		.amdhsa_exception_int_div_zero 0
	.end_amdhsa_kernel
	.section	.text._Z16histogram_kernelILj162ELj7ELj162ELN6hipcub23BlockHistogramAlgorithmE1EjEvPT3_S3_,"axG",@progbits,_Z16histogram_kernelILj162ELj7ELj162ELN6hipcub23BlockHistogramAlgorithmE1EjEvPT3_S3_,comdat
.Lfunc_end11:
	.size	_Z16histogram_kernelILj162ELj7ELj162ELN6hipcub23BlockHistogramAlgorithmE1EjEvPT3_S3_, .Lfunc_end11-_Z16histogram_kernelILj162ELj7ELj162ELN6hipcub23BlockHistogramAlgorithmE1EjEvPT3_S3_
                                        ; -- End function
	.set _Z16histogram_kernelILj162ELj7ELj162ELN6hipcub23BlockHistogramAlgorithmE1EjEvPT3_S3_.num_vgpr, 42
	.set _Z16histogram_kernelILj162ELj7ELj162ELN6hipcub23BlockHistogramAlgorithmE1EjEvPT3_S3_.num_agpr, 0
	.set _Z16histogram_kernelILj162ELj7ELj162ELN6hipcub23BlockHistogramAlgorithmE1EjEvPT3_S3_.numbered_sgpr, 42
	.set _Z16histogram_kernelILj162ELj7ELj162ELN6hipcub23BlockHistogramAlgorithmE1EjEvPT3_S3_.num_named_barrier, 0
	.set _Z16histogram_kernelILj162ELj7ELj162ELN6hipcub23BlockHistogramAlgorithmE1EjEvPT3_S3_.private_seg_size, 0
	.set _Z16histogram_kernelILj162ELj7ELj162ELN6hipcub23BlockHistogramAlgorithmE1EjEvPT3_S3_.uses_vcc, 1
	.set _Z16histogram_kernelILj162ELj7ELj162ELN6hipcub23BlockHistogramAlgorithmE1EjEvPT3_S3_.uses_flat_scratch, 0
	.set _Z16histogram_kernelILj162ELj7ELj162ELN6hipcub23BlockHistogramAlgorithmE1EjEvPT3_S3_.has_dyn_sized_stack, 0
	.set _Z16histogram_kernelILj162ELj7ELj162ELN6hipcub23BlockHistogramAlgorithmE1EjEvPT3_S3_.has_recursion, 0
	.set _Z16histogram_kernelILj162ELj7ELj162ELN6hipcub23BlockHistogramAlgorithmE1EjEvPT3_S3_.has_indirect_call, 0
	.section	.AMDGPU.csdata,"",@progbits
; Kernel info:
; codeLenInByte = 2552
; TotalNumSgprs: 46
; NumVgprs: 42
; ScratchSize: 0
; MemoryBound: 0
; FloatMode: 240
; IeeeMode: 1
; LDSByteSize: 5848 bytes/workgroup (compile time only)
; SGPRBlocks: 8
; VGPRBlocks: 10
; NumSGPRsForWavesPerEU: 65
; NumVGPRsForWavesPerEU: 42
; Occupancy: 5
; WaveLimiterHint : 0
; COMPUTE_PGM_RSRC2:SCRATCH_EN: 0
; COMPUTE_PGM_RSRC2:USER_SGPR: 6
; COMPUTE_PGM_RSRC2:TRAP_HANDLER: 0
; COMPUTE_PGM_RSRC2:TGID_X_EN: 1
; COMPUTE_PGM_RSRC2:TGID_Y_EN: 0
; COMPUTE_PGM_RSRC2:TGID_Z_EN: 0
; COMPUTE_PGM_RSRC2:TIDIG_COMP_CNT: 0
	.section	.text._Z16histogram_kernelILj65ELj5ELj65ELN6hipcub23BlockHistogramAlgorithmE1EjEvPT3_S3_,"axG",@progbits,_Z16histogram_kernelILj65ELj5ELj65ELN6hipcub23BlockHistogramAlgorithmE1EjEvPT3_S3_,comdat
	.protected	_Z16histogram_kernelILj65ELj5ELj65ELN6hipcub23BlockHistogramAlgorithmE1EjEvPT3_S3_ ; -- Begin function _Z16histogram_kernelILj65ELj5ELj65ELN6hipcub23BlockHistogramAlgorithmE1EjEvPT3_S3_
	.globl	_Z16histogram_kernelILj65ELj5ELj65ELN6hipcub23BlockHistogramAlgorithmE1EjEvPT3_S3_
	.p2align	8
	.type	_Z16histogram_kernelILj65ELj5ELj65ELN6hipcub23BlockHistogramAlgorithmE1EjEvPT3_S3_,@function
_Z16histogram_kernelILj65ELj5ELj65ELN6hipcub23BlockHistogramAlgorithmE1EjEvPT3_S3_: ; @_Z16histogram_kernelILj65ELj5ELj65ELN6hipcub23BlockHistogramAlgorithmE1EjEvPT3_S3_
; %bb.0:
	s_load_dwordx4 s[40:43], s[4:5], 0x0
	s_mulk_i32 s6, 0x41
	v_add_u32_e32 v9, s6, v0
	v_lshl_add_u32 v10, v9, 2, v9
	v_mov_b32_e32 v11, 0
	v_lshlrev_b64 v[1:2], 2, v[10:11]
	s_waitcnt lgkmcnt(0)
	v_mov_b32_e32 v3, s41
	v_add_co_u32_e32 v6, vcc, s40, v1
	v_addc_co_u32_e32 v7, vcc, v3, v2, vcc
	v_add_u32_e32 v1, 1, v10
	v_mov_b32_e32 v2, v11
	v_lshlrev_b64 v[1:2], 2, v[1:2]
	s_movk_i32 s33, 0x41
	v_add_co_u32_e32 v12, vcc, s40, v1
	v_addc_co_u32_e32 v13, vcc, v3, v2, vcc
	v_add_u32_e32 v1, 2, v10
	v_mov_b32_e32 v2, v11
	v_lshlrev_b64 v[1:2], 2, v[1:2]
	v_cmp_gt_u32_e64 s[0:1], s33, v0
	v_add_co_u32_e32 v14, vcc, s40, v1
	v_addc_co_u32_e32 v15, vcc, v3, v2, vcc
	v_add_u32_e32 v1, 3, v10
	v_mov_b32_e32 v2, v11
	v_lshlrev_b64 v[1:2], 2, v[1:2]
	v_add_u32_e32 v10, 4, v10
	v_add_co_u32_e32 v16, vcc, s40, v1
	v_addc_co_u32_e32 v17, vcc, v3, v2, vcc
	v_lshlrev_b64 v[1:2], 2, v[10:11]
	v_add_co_u32_e32 v18, vcc, s40, v1
	v_addc_co_u32_e32 v19, vcc, v3, v2, vcc
	global_load_dword v1, v[6:7], off
	global_load_dword v2, v[12:13], off
	;; [unrolled: 1-line block ×5, first 2 shown]
	v_lshlrev_b32_e32 v12, 2, v0
	s_and_saveexec_b64 s[2:3], s[0:1]
; %bb.1:
	v_mov_b32_e32 v6, 0
	ds_write_b32 v12, v6 offset:2096
; %bb.2:
	s_or_b64 exec, exec, s[2:3]
	v_mbcnt_lo_u32_b32 v6, -1, 0
	v_mbcnt_hi_u32_b32 v6, -1, v6
	v_and_b32_e32 v7, 15, v6
	v_cmp_eq_u32_e64 s[4:5], 0, v7
	v_cmp_lt_u32_e64 s[6:7], 1, v7
	v_cmp_lt_u32_e64 s[8:9], 3, v7
	;; [unrolled: 1-line block ×3, first 2 shown]
	v_and_b32_e32 v7, 16, v6
	v_cmp_gt_u32_e32 vcc, 64, v0
	v_cmp_eq_u32_e64 s[12:13], 0, v7
	v_cndmask_b32_e64 v7, 64, 63, vcc
	v_cmp_eq_u32_e64 s[18:19], v0, v7
	v_subrev_co_u32_e64 v7, s[22:23], 1, v6
	v_and_b32_e32 v8, 64, v6
	v_cmp_lt_i32_e32 vcc, v7, v8
	v_lshlrev_b32_e32 v10, 5, v0
	v_cmp_lt_u32_e64 s[14:15], 31, v6
	v_cndmask_b32_e32 v7, v7, v6, vcc
	s_movk_i32 s24, 0xffe4
	v_and_b32_e32 v6, 1, v6
	v_mad_i32_i24 v16, v0, s24, v10
	v_cmp_eq_u32_e64 s[24:25], 0, v6
	v_lshlrev_b32_e32 v6, 4, v0
	s_movk_i32 s2, 0x208
	v_lshlrev_b32_e32 v14, 2, v7
	v_lshrrev_b32_e32 v7, 4, v0
	v_add_u32_e32 v13, v16, v6
	v_sub_u32_e32 v6, 0, v6
	s_movk_i32 s26, 0x1c7
	s_movk_i32 s28, 0x186
	;; [unrolled: 1-line block ×6, first 2 shown]
	v_cmp_gt_u32_e64 s[2:3], s2, v0
	v_cmp_lt_u32_e64 s[16:17], 63, v0
	v_cmp_gt_u32_e64 s[20:21], 2, v0
	v_and_b32_e32 v15, 4, v7
	v_cmp_gt_u32_e64 s[26:27], s26, v0
	v_cmp_gt_u32_e64 s[28:29], s28, v0
	;; [unrolled: 1-line block ×6, first 2 shown]
	v_add_u32_e32 v19, v13, v6
	v_mov_b32_e32 v21, 0
	s_waitcnt vmcnt(0) lgkmcnt(0)
	s_barrier
	s_branch .LBB12_4
.LBB12_3:                               ;   in Loop: Header=BB12_4 Depth=1
	s_andn2_b64 vcc, exec, s[40:41]
	s_cbranch_vccz .LBB12_21
.LBB12_4:                               ; =>This Inner Loop Header: Depth=1
	v_mov_b32_e32 v17, v5
	v_mov_b32_e32 v18, v4
	;; [unrolled: 1-line block ×5, first 2 shown]
	s_and_saveexec_b64 s[40:41], s[2:3]
	s_cbranch_execz .LBB12_13
; %bb.5:                                ;   in Loop: Header=BB12_4 Depth=1
	ds_write_b32 v19, v11
	s_and_b64 exec, exec, s[26:27]
	s_cbranch_execz .LBB12_13
; %bb.6:                                ;   in Loop: Header=BB12_4 Depth=1
	ds_write_b32 v19, v11 offset:260
	s_and_b64 exec, exec, s[28:29]
	s_cbranch_execz .LBB12_13
; %bb.7:                                ;   in Loop: Header=BB12_4 Depth=1
	ds_write_b32 v19, v11 offset:520
	;; [unrolled: 4-line block ×4, first 2 shown]
	s_and_b64 exec, exec, s[36:37]
	s_cbranch_execz .LBB12_13
; %bb.10:                               ;   in Loop: Header=BB12_4 Depth=1
	ds_write_b32 v19, v11 offset:1300
	s_and_b64 exec, exec, s[38:39]
	s_cbranch_execz .LBB12_13
; %bb.11:                               ;   in Loop: Header=BB12_4 Depth=1
	ds_write_b32 v19, v11 offset:1560
	s_and_b64 exec, exec, s[0:1]
; %bb.12:                               ;   in Loop: Header=BB12_4 Depth=1
	ds_write_b32 v19, v11 offset:1820
.LBB12_13:                              ;   in Loop: Header=BB12_4 Depth=1
	s_or_b64 exec, exec, s[40:41]
	v_lshrrev_b32_e32 v1, v21, v23
	v_bfe_u32 v2, v23, v21, 3
	v_lshrrev_b32_e32 v1, 2, v1
	v_mad_u32_u24 v2, v2, s33, v0
	v_and_b32_e32 v1, 2, v1
	v_lshl_or_b32 v25, v2, 2, v1
	ds_read_u16 v24, v25
	v_lshrrev_b32_e32 v1, v21, v22
	v_bfe_u32 v2, v22, v21, 3
	v_lshrrev_b32_e32 v1, 2, v1
	v_mad_u32_u24 v2, v2, s33, v0
	s_waitcnt lgkmcnt(0)
	v_add_u16_e32 v3, 1, v24
	v_and_b32_e32 v1, 2, v1
	ds_write_b16 v25, v3
	v_lshl_or_b32 v27, v2, 2, v1
	ds_read_u16 v26, v27
	v_bfe_u32 v2, v20, v21, 3
	v_mad_u32_u24 v2, v2, s33, v0
	s_waitcnt lgkmcnt(0)
	v_add_u16_e32 v1, 1, v26
	ds_write_b16 v27, v1
	v_lshrrev_b32_e32 v1, v21, v20
	v_lshrrev_b32_e32 v1, 2, v1
	v_and_b32_e32 v1, 2, v1
	v_lshl_or_b32 v29, v2, 2, v1
	ds_read_u16 v28, v29
	v_bfe_u32 v2, v18, v21, 3
	v_mad_u32_u24 v2, v2, s33, v0
	s_waitcnt lgkmcnt(0)
	v_add_u16_e32 v1, 1, v28
	ds_write_b16 v29, v1
	v_lshrrev_b32_e32 v1, v21, v18
	v_lshrrev_b32_e32 v1, 2, v1
	v_and_b32_e32 v1, 2, v1
	;; [unrolled: 10-line block ×3, first 2 shown]
	v_lshl_or_b32 v33, v2, 2, v1
	ds_read_u16 v32, v33
	s_waitcnt lgkmcnt(0)
	v_add_u16_e32 v1, 1, v32
	ds_write_b16 v33, v1
	s_waitcnt lgkmcnt(0)
	s_barrier
	ds_read2_b64 v[5:8], v10 offset1:1
	ds_read2_b64 v[1:4], v10 offset0:2 offset1:3
	s_waitcnt lgkmcnt(1)
	v_add_u32_e32 v34, v6, v5
	v_add3_u32 v34, v34, v7, v8
	s_waitcnt lgkmcnt(0)
	v_add3_u32 v34, v34, v1, v2
	v_add3_u32 v4, v34, v3, v4
	s_nop 1
	v_mov_b32_dpp v34, v4 row_shr:1 row_mask:0xf bank_mask:0xf
	v_cndmask_b32_e64 v34, v34, 0, s[4:5]
	v_add_u32_e32 v4, v34, v4
	s_nop 1
	v_mov_b32_dpp v34, v4 row_shr:2 row_mask:0xf bank_mask:0xf
	v_cndmask_b32_e64 v34, 0, v34, s[6:7]
	v_add_u32_e32 v4, v4, v34
	;; [unrolled: 4-line block ×4, first 2 shown]
	s_nop 1
	v_mov_b32_dpp v34, v4 row_bcast:15 row_mask:0xf bank_mask:0xf
	v_cndmask_b32_e64 v34, v34, 0, s[12:13]
	v_add_u32_e32 v4, v4, v34
	s_nop 1
	v_mov_b32_dpp v34, v4 row_bcast:31 row_mask:0xf bank_mask:0xf
	v_cndmask_b32_e64 v34, 0, v34, s[14:15]
	v_add_u32_e32 v4, v4, v34
	s_and_saveexec_b64 s[40:41], s[18:19]
; %bb.14:                               ;   in Loop: Header=BB12_4 Depth=1
	ds_write_b32 v15, v4 offset:2080
; %bb.15:                               ;   in Loop: Header=BB12_4 Depth=1
	s_or_b64 exec, exec, s[40:41]
	s_waitcnt lgkmcnt(0)
	s_barrier
	s_and_saveexec_b64 s[40:41], s[20:21]
	s_cbranch_execz .LBB12_17
; %bb.16:                               ;   in Loop: Header=BB12_4 Depth=1
	ds_read_b32 v34, v16 offset:2080
	s_waitcnt lgkmcnt(0)
	s_nop 0
	v_mov_b32_dpp v35, v34 row_shr:1 row_mask:0xf bank_mask:0xf
	v_cndmask_b32_e64 v35, v35, 0, s[24:25]
	v_add_u32_e32 v34, v35, v34
	ds_write_b32 v16, v34 offset:2080
.LBB12_17:                              ;   in Loop: Header=BB12_4 Depth=1
	s_or_b64 exec, exec, s[40:41]
	v_mov_b32_e32 v34, 0
	s_waitcnt lgkmcnt(0)
	s_barrier
	s_and_saveexec_b64 s[40:41], s[16:17]
; %bb.18:                               ;   in Loop: Header=BB12_4 Depth=1
	ds_read_b32 v34, v15 offset:2076
; %bb.19:                               ;   in Loop: Header=BB12_4 Depth=1
	s_or_b64 exec, exec, s[40:41]
	s_waitcnt lgkmcnt(0)
	v_add_u32_e32 v4, v34, v4
	ds_bpermute_b32 v4, v14, v4
	ds_read_b32 v35, v11 offset:2084
	v_cmp_lt_u32_e32 vcc, 27, v21
	s_and_b64 vcc, exec, vcc
	s_mov_b64 s[40:41], -1
	s_waitcnt lgkmcnt(1)
	v_cndmask_b32_e64 v4, v4, v34, s[22:23]
	s_waitcnt lgkmcnt(0)
	v_lshl_add_u32 v4, v35, 16, v4
	v_add_u32_e32 v5, v4, v5
	v_add_u32_e32 v6, v5, v6
	;; [unrolled: 1-line block ×7, first 2 shown]
	ds_write2_b64 v10, v[4:5], v[6:7] offset1:1
	ds_write2_b64 v10, v[34:35], v[1:2] offset0:2 offset1:3
	s_waitcnt lgkmcnt(0)
	s_barrier
	ds_read_u16 v1, v25
	ds_read_u16 v2, v27
	;; [unrolled: 1-line block ×5, first 2 shown]
	s_waitcnt lgkmcnt(4)
	v_add_u32_sdwa v25, v1, v24 dst_sel:DWORD dst_unused:UNUSED_PAD src0_sel:DWORD src1_sel:WORD_0
	s_waitcnt lgkmcnt(3)
	v_add_u32_sdwa v24, v2, v26 dst_sel:DWORD dst_unused:UNUSED_PAD src0_sel:DWORD src1_sel:WORD_0
	;; [unrolled: 2-line block ×5, first 2 shown]
                                        ; implicit-def: $vgpr5
                                        ; implicit-def: $vgpr4
                                        ; implicit-def: $vgpr2
	s_cbranch_vccnz .LBB12_3
; %bb.20:                               ;   in Loop: Header=BB12_4 Depth=1
	v_lshlrev_b32_e32 v1, 2, v25
	s_barrier
	ds_write_b32 v1, v23
	v_lshlrev_b32_e32 v1, 2, v24
	ds_write_b32 v1, v22
	v_lshlrev_b32_e32 v1, 2, v8
	;; [unrolled: 2-line block ×4, first 2 shown]
	ds_write_b32 v1, v17
	s_waitcnt lgkmcnt(0)
	s_barrier
	ds_read2_b32 v[1:2], v13 offset1:1
	ds_read2_b32 v[3:4], v13 offset0:2 offset1:3
	ds_read_b32 v5, v13 offset:16
	v_add_u32_e32 v21, 4, v21
	s_mov_b64 s[40:41], 0
	s_waitcnt lgkmcnt(0)
	s_barrier
	s_branch .LBB12_3
.LBB12_21:
	v_lshlrev_b32_e32 v1, 2, v25
	s_barrier
	ds_write_b32 v1, v23
	v_lshlrev_b32_e32 v1, 2, v24
	ds_write_b32 v1, v22
	v_lshlrev_b32_e32 v1, 2, v8
	ds_write_b32 v1, v20
	v_lshlrev_b32_e32 v1, 2, v7
	ds_write_b32 v1, v18
	v_lshlrev_b32_e32 v1, 2, v6
	ds_write_b32 v1, v17
	s_waitcnt lgkmcnt(0)
	s_barrier
	ds_read2_b32 v[1:2], v13 offset1:1
	ds_read2_b32 v[3:4], v13 offset0:2 offset1:3
	ds_read_b32 v6, v13 offset:16
	s_waitcnt lgkmcnt(0)
	s_barrier
	s_and_saveexec_b64 s[2:3], s[0:1]
; %bb.22:
	v_mov_b32_e32 v5, 0x145
	ds_write2_b32 v12, v5, v5 offset0:130 offset1:195
; %bb.23:
	s_or_b64 exec, exec, s[2:3]
	v_mul_u32_u24_e32 v5, 5, v0
	v_cmp_ne_u32_e32 vcc, v4, v6
	v_lshlrev_b32_e32 v7, 2, v4
	s_waitcnt lgkmcnt(0)
	s_barrier
	ds_write_b32 v12, v6
	s_and_saveexec_b64 s[2:3], vcc
	s_cbranch_execz .LBB12_25
; %bb.24:
	v_lshlrev_b32_e32 v6, 2, v6
	v_add_u32_e32 v8, 4, v5
	ds_write_b32 v6, v8 offset:520
	ds_write_b32 v7, v8 offset:780
.LBB12_25:
	s_or_b64 exec, exec, s[2:3]
	v_cmp_ne_u32_e32 vcc, v3, v4
	v_lshlrev_b32_e32 v4, 2, v3
	s_and_saveexec_b64 s[2:3], vcc
	s_cbranch_execz .LBB12_27
; %bb.26:
	v_add_u32_e32 v6, 3, v5
	ds_write_b32 v7, v6 offset:520
	ds_write_b32 v4, v6 offset:780
.LBB12_27:
	s_or_b64 exec, exec, s[2:3]
	v_cmp_ne_u32_e32 vcc, v2, v3
	v_lshlrev_b32_e32 v3, 2, v2
	s_and_saveexec_b64 s[2:3], vcc
	s_cbranch_execz .LBB12_29
; %bb.28:
	v_add_u32_e32 v6, 2, v5
	ds_write_b32 v4, v6 offset:520
	ds_write_b32 v3, v6 offset:780
.LBB12_29:
	;; [unrolled: 10-line block ×3, first 2 shown]
	s_or_b64 exec, exec, s[2:3]
	v_cmp_eq_u32_e32 vcc, 0, v0
	v_cmp_ne_u32_e64 s[2:3], 0, v0
	s_waitcnt lgkmcnt(0)
	s_barrier
	s_and_saveexec_b64 s[4:5], s[2:3]
	s_cbranch_execz .LBB12_34
; %bb.32:
	v_add_u32_e32 v0, -4, v12
	ds_read_b32 v3, v0
	s_waitcnt lgkmcnt(0)
	v_cmp_ne_u32_e64 s[2:3], v3, v1
	s_and_b64 exec, exec, s[2:3]
	s_cbranch_execz .LBB12_34
; %bb.33:
	ds_write_b32 v2, v5 offset:520
	ds_read_b32 v0, v0
	s_waitcnt lgkmcnt(0)
	v_lshlrev_b32_e32 v0, 2, v0
	ds_write_b32 v0, v5 offset:780
.LBB12_34:
	s_or_b64 exec, exec, s[4:5]
	s_waitcnt lgkmcnt(0)
	s_barrier
	s_and_saveexec_b64 s[2:3], vcc
; %bb.35:
	v_mov_b32_e32 v0, 0
	ds_write_b32 v2, v0 offset:520
; %bb.36:
	s_or_b64 exec, exec, s[2:3]
	s_waitcnt lgkmcnt(0)
	s_barrier
	s_and_saveexec_b64 s[2:3], s[0:1]
	s_cbranch_execz .LBB12_38
; %bb.37:
	ds_read2_b32 v[0:1], v12 offset0:130 offset1:195
	ds_read_b32 v2, v12 offset:2096
	s_waitcnt lgkmcnt(1)
	v_sub_u32_e32 v0, v1, v0
	s_waitcnt lgkmcnt(0)
	v_add_u32_e32 v0, v0, v2
	ds_write_b32 v12, v0 offset:2096
.LBB12_38:
	s_or_b64 exec, exec, s[2:3]
	s_waitcnt lgkmcnt(0)
	s_barrier
	s_and_saveexec_b64 s[2:3], s[0:1]
	s_cbranch_execz .LBB12_40
; %bb.39:
	v_mov_b32_e32 v10, 0
	ds_read_b32 v3, v12 offset:2096
	v_lshlrev_b64 v[0:1], 2, v[9:10]
	v_mov_b32_e32 v2, s43
	v_add_co_u32_e32 v0, vcc, s42, v0
	v_addc_co_u32_e32 v1, vcc, v2, v1, vcc
	s_waitcnt lgkmcnt(0)
	global_store_dword v[0:1], v3, off
.LBB12_40:
	s_endpgm
	.section	.rodata,"a",@progbits
	.p2align	6, 0x0
	.amdhsa_kernel _Z16histogram_kernelILj65ELj5ELj65ELN6hipcub23BlockHistogramAlgorithmE1EjEvPT3_S3_
		.amdhsa_group_segment_fixed_size 2356
		.amdhsa_private_segment_fixed_size 0
		.amdhsa_kernarg_size 16
		.amdhsa_user_sgpr_count 6
		.amdhsa_user_sgpr_private_segment_buffer 1
		.amdhsa_user_sgpr_dispatch_ptr 0
		.amdhsa_user_sgpr_queue_ptr 0
		.amdhsa_user_sgpr_kernarg_segment_ptr 1
		.amdhsa_user_sgpr_dispatch_id 0
		.amdhsa_user_sgpr_flat_scratch_init 0
		.amdhsa_user_sgpr_private_segment_size 0
		.amdhsa_uses_dynamic_stack 0
		.amdhsa_system_sgpr_private_segment_wavefront_offset 0
		.amdhsa_system_sgpr_workgroup_id_x 1
		.amdhsa_system_sgpr_workgroup_id_y 0
		.amdhsa_system_sgpr_workgroup_id_z 0
		.amdhsa_system_sgpr_workgroup_info 0
		.amdhsa_system_vgpr_workitem_id 0
		.amdhsa_next_free_vgpr 36
		.amdhsa_next_free_sgpr 61
		.amdhsa_reserve_vcc 1
		.amdhsa_reserve_flat_scratch 0
		.amdhsa_float_round_mode_32 0
		.amdhsa_float_round_mode_16_64 0
		.amdhsa_float_denorm_mode_32 3
		.amdhsa_float_denorm_mode_16_64 3
		.amdhsa_dx10_clamp 1
		.amdhsa_ieee_mode 1
		.amdhsa_fp16_overflow 0
		.amdhsa_exception_fp_ieee_invalid_op 0
		.amdhsa_exception_fp_denorm_src 0
		.amdhsa_exception_fp_ieee_div_zero 0
		.amdhsa_exception_fp_ieee_overflow 0
		.amdhsa_exception_fp_ieee_underflow 0
		.amdhsa_exception_fp_ieee_inexact 0
		.amdhsa_exception_int_div_zero 0
	.end_amdhsa_kernel
	.section	.text._Z16histogram_kernelILj65ELj5ELj65ELN6hipcub23BlockHistogramAlgorithmE1EjEvPT3_S3_,"axG",@progbits,_Z16histogram_kernelILj65ELj5ELj65ELN6hipcub23BlockHistogramAlgorithmE1EjEvPT3_S3_,comdat
.Lfunc_end12:
	.size	_Z16histogram_kernelILj65ELj5ELj65ELN6hipcub23BlockHistogramAlgorithmE1EjEvPT3_S3_, .Lfunc_end12-_Z16histogram_kernelILj65ELj5ELj65ELN6hipcub23BlockHistogramAlgorithmE1EjEvPT3_S3_
                                        ; -- End function
	.set _Z16histogram_kernelILj65ELj5ELj65ELN6hipcub23BlockHistogramAlgorithmE1EjEvPT3_S3_.num_vgpr, 36
	.set _Z16histogram_kernelILj65ELj5ELj65ELN6hipcub23BlockHistogramAlgorithmE1EjEvPT3_S3_.num_agpr, 0
	.set _Z16histogram_kernelILj65ELj5ELj65ELN6hipcub23BlockHistogramAlgorithmE1EjEvPT3_S3_.numbered_sgpr, 44
	.set _Z16histogram_kernelILj65ELj5ELj65ELN6hipcub23BlockHistogramAlgorithmE1EjEvPT3_S3_.num_named_barrier, 0
	.set _Z16histogram_kernelILj65ELj5ELj65ELN6hipcub23BlockHistogramAlgorithmE1EjEvPT3_S3_.private_seg_size, 0
	.set _Z16histogram_kernelILj65ELj5ELj65ELN6hipcub23BlockHistogramAlgorithmE1EjEvPT3_S3_.uses_vcc, 1
	.set _Z16histogram_kernelILj65ELj5ELj65ELN6hipcub23BlockHistogramAlgorithmE1EjEvPT3_S3_.uses_flat_scratch, 0
	.set _Z16histogram_kernelILj65ELj5ELj65ELN6hipcub23BlockHistogramAlgorithmE1EjEvPT3_S3_.has_dyn_sized_stack, 0
	.set _Z16histogram_kernelILj65ELj5ELj65ELN6hipcub23BlockHistogramAlgorithmE1EjEvPT3_S3_.has_recursion, 0
	.set _Z16histogram_kernelILj65ELj5ELj65ELN6hipcub23BlockHistogramAlgorithmE1EjEvPT3_S3_.has_indirect_call, 0
	.section	.AMDGPU.csdata,"",@progbits
; Kernel info:
; codeLenInByte = 2164
; TotalNumSgprs: 48
; NumVgprs: 36
; ScratchSize: 0
; MemoryBound: 0
; FloatMode: 240
; IeeeMode: 1
; LDSByteSize: 2356 bytes/workgroup (compile time only)
; SGPRBlocks: 8
; VGPRBlocks: 8
; NumSGPRsForWavesPerEU: 65
; NumVGPRsForWavesPerEU: 36
; Occupancy: 7
; WaveLimiterHint : 0
; COMPUTE_PGM_RSRC2:SCRATCH_EN: 0
; COMPUTE_PGM_RSRC2:USER_SGPR: 6
; COMPUTE_PGM_RSRC2:TRAP_HANDLER: 0
; COMPUTE_PGM_RSRC2:TGID_X_EN: 1
; COMPUTE_PGM_RSRC2:TGID_Y_EN: 0
; COMPUTE_PGM_RSRC2:TGID_Z_EN: 0
; COMPUTE_PGM_RSRC2:TIDIG_COMP_CNT: 0
	.section	.text._Z16histogram_kernelILj37ELj2ELj37ELN6hipcub23BlockHistogramAlgorithmE1EjEvPT3_S3_,"axG",@progbits,_Z16histogram_kernelILj37ELj2ELj37ELN6hipcub23BlockHistogramAlgorithmE1EjEvPT3_S3_,comdat
	.protected	_Z16histogram_kernelILj37ELj2ELj37ELN6hipcub23BlockHistogramAlgorithmE1EjEvPT3_S3_ ; -- Begin function _Z16histogram_kernelILj37ELj2ELj37ELN6hipcub23BlockHistogramAlgorithmE1EjEvPT3_S3_
	.globl	_Z16histogram_kernelILj37ELj2ELj37ELN6hipcub23BlockHistogramAlgorithmE1EjEvPT3_S3_
	.p2align	8
	.type	_Z16histogram_kernelILj37ELj2ELj37ELN6hipcub23BlockHistogramAlgorithmE1EjEvPT3_S3_,@function
_Z16histogram_kernelILj37ELj2ELj37ELN6hipcub23BlockHistogramAlgorithmE1EjEvPT3_S3_: ; @_Z16histogram_kernelILj37ELj2ELj37ELN6hipcub23BlockHistogramAlgorithmE1EjEvPT3_S3_
; %bb.0:
	v_mad_u64_u32 v[9:10], s[0:1], s6, 37, v[0:1]
	s_load_dwordx4 s[36:39], s[4:5], 0x0
	v_mov_b32_e32 v11, 0
	v_lshlrev_b32_e32 v10, 1, v9
	v_lshlrev_b64 v[1:2], 2, v[10:11]
	v_cmp_gt_u32_e64 s[0:1], 37, v0
	s_waitcnt lgkmcnt(0)
	v_mov_b32_e32 v3, s37
	v_add_co_u32_e32 v1, vcc, s36, v1
	v_addc_co_u32_e32 v2, vcc, v3, v2, vcc
	global_load_dwordx2 v[1:2], v[1:2], off
	v_lshlrev_b32_e32 v12, 2, v0
	s_and_saveexec_b64 s[2:3], s[0:1]
; %bb.1:
	v_mov_b32_e32 v3, 0
	ds_write_b32 v12, v3 offset:1200
; %bb.2:
	s_or_b64 exec, exec, s[2:3]
	v_mbcnt_lo_u32_b32 v3, -1, 0
	v_mbcnt_hi_u32_b32 v3, -1, v3
	v_and_b32_e32 v4, 15, v3
	v_cmp_eq_u32_e64 s[4:5], 0, v4
	v_cmp_lt_u32_e64 s[6:7], 1, v4
	v_cmp_lt_u32_e64 s[8:9], 3, v4
	;; [unrolled: 1-line block ×3, first 2 shown]
	v_and_b32_e32 v4, 16, v3
	v_cmp_eq_u32_e64 s[12:13], 0, v4
	v_subrev_co_u32_e64 v4, s[18:19], 1, v3
	v_and_b32_e32 v5, 64, v3
	v_cmp_lt_i32_e32 vcc, v4, v5
	v_lshlrev_b32_e32 v10, 5, v0
	v_cmp_lt_u32_e64 s[14:15], 31, v3
	v_cndmask_b32_e32 v3, v4, v3, vcc
	s_movk_i32 s20, 0xffe8
	s_movk_i32 s2, 0x128
	v_lshlrev_b32_e32 v14, 2, v3
	v_mad_i32_i24 v13, v0, s20, v10
	v_sub_u32_e32 v3, 0, v12
	s_movk_i32 s20, 0x103
	s_movk_i32 s22, 0xde
	;; [unrolled: 1-line block ×6, first 2 shown]
	v_cmp_gt_u32_e64 s[2:3], s2, v0
	v_cmp_eq_u32_e64 s[16:17], 36, v0
	v_cmp_gt_u32_e64 s[20:21], s20, v0
	v_cmp_gt_u32_e64 s[22:23], s22, v0
	v_cmp_gt_u32_e64 s[24:25], s24, v0
	v_cmp_gt_u32_e64 s[26:27], s26, v0
	v_cmp_gt_u32_e64 s[28:29], s28, v0
	v_cmp_gt_u32_e64 s[30:31], s30, v0
	v_add_u32_e32 v16, v13, v3
	v_mov_b32_e32 v18, 0
	s_waitcnt lgkmcnt(0)
	; wave barrier
	s_branch .LBB13_4
.LBB13_3:                               ;   in Loop: Header=BB13_4 Depth=1
	s_andn2_b64 vcc, exec, s[34:35]
	s_cbranch_vccz .LBB13_17
.LBB13_4:                               ; =>This Inner Loop Header: Depth=1
	s_waitcnt vmcnt(0)
	v_mov_b32_e32 v15, v2
	v_mov_b32_e32 v17, v1
	s_and_saveexec_b64 s[34:35], s[2:3]
	s_cbranch_execz .LBB13_13
; %bb.5:                                ;   in Loop: Header=BB13_4 Depth=1
	ds_write_b32 v16, v11
	s_and_b64 exec, exec, s[20:21]
	s_cbranch_execz .LBB13_13
; %bb.6:                                ;   in Loop: Header=BB13_4 Depth=1
	ds_write_b32 v16, v11 offset:148
	s_and_b64 exec, exec, s[22:23]
	s_cbranch_execz .LBB13_13
; %bb.7:                                ;   in Loop: Header=BB13_4 Depth=1
	ds_write_b32 v16, v11 offset:296
	;; [unrolled: 4-line block ×4, first 2 shown]
	s_and_b64 exec, exec, s[28:29]
	s_cbranch_execz .LBB13_13
; %bb.10:                               ;   in Loop: Header=BB13_4 Depth=1
	ds_write_b32 v16, v11 offset:740
	s_and_b64 exec, exec, s[30:31]
	s_cbranch_execz .LBB13_13
; %bb.11:                               ;   in Loop: Header=BB13_4 Depth=1
	ds_write_b32 v16, v11 offset:888
	s_and_b64 exec, exec, s[0:1]
; %bb.12:                               ;   in Loop: Header=BB13_4 Depth=1
	ds_write_b32 v16, v11 offset:1036
.LBB13_13:                              ;   in Loop: Header=BB13_4 Depth=1
	s_or_b64 exec, exec, s[34:35]
	v_lshrrev_b32_e32 v1, v18, v17
	v_bfe_u32 v2, v17, v18, 3
	v_lshrrev_b32_e32 v1, 2, v1
	v_mad_u32_u24 v2, v2, 37, v0
	v_and_b32_e32 v1, 2, v1
	v_lshl_or_b32 v20, v2, 2, v1
	ds_read_u16 v19, v20
	v_lshrrev_b32_e32 v1, v18, v15
	v_bfe_u32 v2, v15, v18, 3
	v_lshrrev_b32_e32 v1, 2, v1
	v_mad_u32_u24 v2, v2, 37, v0
	s_waitcnt lgkmcnt(0)
	v_add_u16_e32 v3, 1, v19
	v_and_b32_e32 v1, 2, v1
	ds_write_b16 v20, v3
	v_lshl_or_b32 v22, v2, 2, v1
	ds_read_u16 v21, v22
	s_waitcnt lgkmcnt(0)
	v_add_u16_e32 v1, 1, v21
	ds_write_b16 v22, v1
	s_waitcnt lgkmcnt(0)
	; wave barrier
	ds_read2_b64 v[5:8], v10 offset1:1
	ds_read2_b64 v[1:4], v10 offset0:2 offset1:3
	s_waitcnt lgkmcnt(1)
	v_add_u32_e32 v23, v6, v5
	v_add3_u32 v23, v23, v7, v8
	s_waitcnt lgkmcnt(0)
	v_add3_u32 v23, v23, v1, v2
	v_add3_u32 v4, v23, v3, v4
	s_nop 1
	v_mov_b32_dpp v23, v4 row_shr:1 row_mask:0xf bank_mask:0xf
	v_cndmask_b32_e64 v23, v23, 0, s[4:5]
	v_add_u32_e32 v4, v23, v4
	s_nop 1
	v_mov_b32_dpp v23, v4 row_shr:2 row_mask:0xf bank_mask:0xf
	v_cndmask_b32_e64 v23, 0, v23, s[6:7]
	v_add_u32_e32 v4, v4, v23
	s_nop 1
	v_mov_b32_dpp v23, v4 row_shr:4 row_mask:0xf bank_mask:0xf
	v_cndmask_b32_e64 v23, 0, v23, s[8:9]
	v_add_u32_e32 v4, v4, v23
	s_nop 1
	v_mov_b32_dpp v23, v4 row_shr:8 row_mask:0xf bank_mask:0xf
	v_cndmask_b32_e64 v23, 0, v23, s[10:11]
	v_add_u32_e32 v4, v4, v23
	s_nop 1
	v_mov_b32_dpp v23, v4 row_bcast:15 row_mask:0xf bank_mask:0xf
	v_cndmask_b32_e64 v23, v23, 0, s[12:13]
	v_add_u32_e32 v4, v4, v23
	s_nop 1
	v_mov_b32_dpp v23, v4 row_bcast:31 row_mask:0xf bank_mask:0xf
	v_cndmask_b32_e64 v23, 0, v23, s[14:15]
	v_add_u32_e32 v4, v4, v23
	s_and_saveexec_b64 s[34:35], s[16:17]
; %bb.14:                               ;   in Loop: Header=BB13_4 Depth=1
	ds_write_b32 v11, v4 offset:1184
; %bb.15:                               ;   in Loop: Header=BB13_4 Depth=1
	s_or_b64 exec, exec, s[34:35]
	ds_bpermute_b32 v4, v14, v4
	s_waitcnt lgkmcnt(0)
	; wave barrier
	ds_read_b32 v23, v11 offset:1184
	v_cmp_lt_u32_e32 vcc, 27, v18
	v_cndmask_b32_e64 v4, v4, 0, s[18:19]
	s_and_b64 vcc, exec, vcc
	s_mov_b64 s[34:35], -1
	s_waitcnt lgkmcnt(0)
	v_lshl_add_u32 v4, v23, 16, v4
	v_add_u32_e32 v5, v4, v5
	v_add_u32_e32 v6, v5, v6
	;; [unrolled: 1-line block ×7, first 2 shown]
	ds_write2_b64 v10, v[4:5], v[6:7] offset1:1
	ds_write2_b64 v10, v[23:24], v[1:2] offset0:2 offset1:3
	s_waitcnt lgkmcnt(0)
	; wave barrier
	ds_read_u16 v1, v20
	ds_read_u16 v2, v22
	s_waitcnt lgkmcnt(1)
	v_add_u32_sdwa v4, v1, v19 dst_sel:DWORD dst_unused:UNUSED_PAD src0_sel:DWORD src1_sel:WORD_0
	s_waitcnt lgkmcnt(0)
	v_add_u32_sdwa v3, v2, v21 dst_sel:DWORD dst_unused:UNUSED_PAD src0_sel:DWORD src1_sel:WORD_0
                                        ; implicit-def: $vgpr2
	s_cbranch_vccnz .LBB13_3
; %bb.16:                               ;   in Loop: Header=BB13_4 Depth=1
	v_lshlrev_b32_e32 v1, 2, v4
	; wave barrier
	ds_write_b32 v1, v17
	v_lshlrev_b32_e32 v1, 2, v3
	ds_write_b32 v1, v15
	s_waitcnt lgkmcnt(0)
	; wave barrier
	ds_read_b64 v[1:2], v13
	v_add_u32_e32 v18, 4, v18
	s_mov_b64 s[34:35], 0
	s_waitcnt lgkmcnt(0)
	; wave barrier
	s_branch .LBB13_3
.LBB13_17:
	v_lshlrev_b32_e32 v1, 2, v4
	; wave barrier
	ds_write_b32 v1, v17
	v_lshlrev_b32_e32 v1, 2, v3
	ds_write_b32 v1, v15
	s_waitcnt lgkmcnt(0)
	; wave barrier
	ds_read_b64 v[1:2], v13
	s_waitcnt lgkmcnt(0)
	; wave barrier
	s_and_saveexec_b64 s[2:3], s[0:1]
; %bb.18:
	v_mov_b32_e32 v3, 0x4a
	ds_write2_b32 v12, v3, v3 offset0:74 offset1:111
; %bb.19:
	s_or_b64 exec, exec, s[2:3]
	v_lshlrev_b32_e32 v4, 1, v0
	v_cmp_ne_u32_e32 vcc, v1, v2
	v_lshlrev_b32_e32 v3, 2, v1
	s_waitcnt lgkmcnt(0)
	; wave barrier
	ds_write_b32 v12, v2
	s_and_saveexec_b64 s[2:3], vcc
	s_cbranch_execz .LBB13_21
; %bb.20:
	v_lshlrev_b32_e32 v2, 2, v2
	v_or_b32_e32 v5, 1, v4
	ds_write_b32 v2, v5 offset:296
	ds_write_b32 v3, v5 offset:444
.LBB13_21:
	s_or_b64 exec, exec, s[2:3]
	v_cmp_eq_u32_e32 vcc, 0, v0
	v_cmp_ne_u32_e64 s[2:3], 0, v0
	s_waitcnt lgkmcnt(0)
	; wave barrier
	s_and_saveexec_b64 s[4:5], s[2:3]
	s_cbranch_execz .LBB13_24
; %bb.22:
	v_add_u32_e32 v0, -4, v12
	ds_read_b32 v2, v0
	s_waitcnt lgkmcnt(0)
	v_cmp_ne_u32_e64 s[2:3], v2, v1
	s_and_b64 exec, exec, s[2:3]
	s_cbranch_execz .LBB13_24
; %bb.23:
	ds_write_b32 v3, v4 offset:296
	ds_read_b32 v0, v0
	s_waitcnt lgkmcnt(0)
	v_lshlrev_b32_e32 v0, 2, v0
	ds_write_b32 v0, v4 offset:444
.LBB13_24:
	s_or_b64 exec, exec, s[4:5]
	s_waitcnt lgkmcnt(0)
	; wave barrier
	s_and_saveexec_b64 s[2:3], vcc
; %bb.25:
	v_mov_b32_e32 v0, 0
	ds_write_b32 v3, v0 offset:296
; %bb.26:
	s_or_b64 exec, exec, s[2:3]
	s_waitcnt lgkmcnt(0)
	; wave barrier
	s_and_saveexec_b64 s[2:3], s[0:1]
	s_cbranch_execz .LBB13_28
; %bb.27:
	ds_read2_b32 v[0:1], v12 offset0:74 offset1:111
	ds_read_b32 v2, v12 offset:1200
	s_waitcnt lgkmcnt(1)
	v_sub_u32_e32 v0, v1, v0
	s_waitcnt lgkmcnt(0)
	v_add_u32_e32 v0, v0, v2
	ds_write_b32 v12, v0 offset:1200
.LBB13_28:
	s_or_b64 exec, exec, s[2:3]
	s_waitcnt lgkmcnt(0)
	; wave barrier
	s_and_saveexec_b64 s[2:3], s[0:1]
	s_cbranch_execz .LBB13_30
; %bb.29:
	v_mov_b32_e32 v10, 0
	ds_read_b32 v3, v12 offset:1200
	v_lshlrev_b64 v[0:1], 2, v[9:10]
	v_mov_b32_e32 v2, s39
	v_add_co_u32_e32 v0, vcc, s38, v0
	v_addc_co_u32_e32 v1, vcc, v2, v1, vcc
	s_waitcnt lgkmcnt(0)
	global_store_dword v[0:1], v3, off
.LBB13_30:
	s_endpgm
	.section	.rodata,"a",@progbits
	.p2align	6, 0x0
	.amdhsa_kernel _Z16histogram_kernelILj37ELj2ELj37ELN6hipcub23BlockHistogramAlgorithmE1EjEvPT3_S3_
		.amdhsa_group_segment_fixed_size 1348
		.amdhsa_private_segment_fixed_size 0
		.amdhsa_kernarg_size 16
		.amdhsa_user_sgpr_count 6
		.amdhsa_user_sgpr_private_segment_buffer 1
		.amdhsa_user_sgpr_dispatch_ptr 0
		.amdhsa_user_sgpr_queue_ptr 0
		.amdhsa_user_sgpr_kernarg_segment_ptr 1
		.amdhsa_user_sgpr_dispatch_id 0
		.amdhsa_user_sgpr_flat_scratch_init 0
		.amdhsa_user_sgpr_private_segment_size 0
		.amdhsa_uses_dynamic_stack 0
		.amdhsa_system_sgpr_private_segment_wavefront_offset 0
		.amdhsa_system_sgpr_workgroup_id_x 1
		.amdhsa_system_sgpr_workgroup_id_y 0
		.amdhsa_system_sgpr_workgroup_id_z 0
		.amdhsa_system_sgpr_workgroup_info 0
		.amdhsa_system_vgpr_workitem_id 0
		.amdhsa_next_free_vgpr 25
		.amdhsa_next_free_sgpr 40
		.amdhsa_reserve_vcc 1
		.amdhsa_reserve_flat_scratch 0
		.amdhsa_float_round_mode_32 0
		.amdhsa_float_round_mode_16_64 0
		.amdhsa_float_denorm_mode_32 3
		.amdhsa_float_denorm_mode_16_64 3
		.amdhsa_dx10_clamp 1
		.amdhsa_ieee_mode 1
		.amdhsa_fp16_overflow 0
		.amdhsa_exception_fp_ieee_invalid_op 0
		.amdhsa_exception_fp_denorm_src 0
		.amdhsa_exception_fp_ieee_div_zero 0
		.amdhsa_exception_fp_ieee_overflow 0
		.amdhsa_exception_fp_ieee_underflow 0
		.amdhsa_exception_fp_ieee_inexact 0
		.amdhsa_exception_int_div_zero 0
	.end_amdhsa_kernel
	.section	.text._Z16histogram_kernelILj37ELj2ELj37ELN6hipcub23BlockHistogramAlgorithmE1EjEvPT3_S3_,"axG",@progbits,_Z16histogram_kernelILj37ELj2ELj37ELN6hipcub23BlockHistogramAlgorithmE1EjEvPT3_S3_,comdat
.Lfunc_end13:
	.size	_Z16histogram_kernelILj37ELj2ELj37ELN6hipcub23BlockHistogramAlgorithmE1EjEvPT3_S3_, .Lfunc_end13-_Z16histogram_kernelILj37ELj2ELj37ELN6hipcub23BlockHistogramAlgorithmE1EjEvPT3_S3_
                                        ; -- End function
	.set _Z16histogram_kernelILj37ELj2ELj37ELN6hipcub23BlockHistogramAlgorithmE1EjEvPT3_S3_.num_vgpr, 25
	.set _Z16histogram_kernelILj37ELj2ELj37ELN6hipcub23BlockHistogramAlgorithmE1EjEvPT3_S3_.num_agpr, 0
	.set _Z16histogram_kernelILj37ELj2ELj37ELN6hipcub23BlockHistogramAlgorithmE1EjEvPT3_S3_.numbered_sgpr, 40
	.set _Z16histogram_kernelILj37ELj2ELj37ELN6hipcub23BlockHistogramAlgorithmE1EjEvPT3_S3_.num_named_barrier, 0
	.set _Z16histogram_kernelILj37ELj2ELj37ELN6hipcub23BlockHistogramAlgorithmE1EjEvPT3_S3_.private_seg_size, 0
	.set _Z16histogram_kernelILj37ELj2ELj37ELN6hipcub23BlockHistogramAlgorithmE1EjEvPT3_S3_.uses_vcc, 1
	.set _Z16histogram_kernelILj37ELj2ELj37ELN6hipcub23BlockHistogramAlgorithmE1EjEvPT3_S3_.uses_flat_scratch, 0
	.set _Z16histogram_kernelILj37ELj2ELj37ELN6hipcub23BlockHistogramAlgorithmE1EjEvPT3_S3_.has_dyn_sized_stack, 0
	.set _Z16histogram_kernelILj37ELj2ELj37ELN6hipcub23BlockHistogramAlgorithmE1EjEvPT3_S3_.has_recursion, 0
	.set _Z16histogram_kernelILj37ELj2ELj37ELN6hipcub23BlockHistogramAlgorithmE1EjEvPT3_S3_.has_indirect_call, 0
	.section	.AMDGPU.csdata,"",@progbits
; Kernel info:
; codeLenInByte = 1348
; TotalNumSgprs: 44
; NumVgprs: 25
; ScratchSize: 0
; MemoryBound: 0
; FloatMode: 240
; IeeeMode: 1
; LDSByteSize: 1348 bytes/workgroup (compile time only)
; SGPRBlocks: 5
; VGPRBlocks: 6
; NumSGPRsForWavesPerEU: 44
; NumVGPRsForWavesPerEU: 25
; Occupancy: 9
; WaveLimiterHint : 0
; COMPUTE_PGM_RSRC2:SCRATCH_EN: 0
; COMPUTE_PGM_RSRC2:USER_SGPR: 6
; COMPUTE_PGM_RSRC2:TRAP_HANDLER: 0
; COMPUTE_PGM_RSRC2:TGID_X_EN: 1
; COMPUTE_PGM_RSRC2:TGID_Y_EN: 0
; COMPUTE_PGM_RSRC2:TGID_Z_EN: 0
; COMPUTE_PGM_RSRC2:TIDIG_COMP_CNT: 0
	.section	.text._Z16histogram_kernelILj1024ELj1ELj1024ELN6hipcub23BlockHistogramAlgorithmE1EjEvPT3_S3_,"axG",@progbits,_Z16histogram_kernelILj1024ELj1ELj1024ELN6hipcub23BlockHistogramAlgorithmE1EjEvPT3_S3_,comdat
	.protected	_Z16histogram_kernelILj1024ELj1ELj1024ELN6hipcub23BlockHistogramAlgorithmE1EjEvPT3_S3_ ; -- Begin function _Z16histogram_kernelILj1024ELj1ELj1024ELN6hipcub23BlockHistogramAlgorithmE1EjEvPT3_S3_
	.globl	_Z16histogram_kernelILj1024ELj1ELj1024ELN6hipcub23BlockHistogramAlgorithmE1EjEvPT3_S3_
	.p2align	8
	.type	_Z16histogram_kernelILj1024ELj1ELj1024ELN6hipcub23BlockHistogramAlgorithmE1EjEvPT3_S3_,@function
_Z16histogram_kernelILj1024ELj1ELj1024ELN6hipcub23BlockHistogramAlgorithmE1EjEvPT3_S3_: ; @_Z16histogram_kernelILj1024ELj1ELj1024ELN6hipcub23BlockHistogramAlgorithmE1EjEvPT3_S3_
; %bb.0:
	s_load_dwordx4 s[24:27], s[4:5], 0x0
	s_load_dword s7, s[4:5], 0x1c
	v_lshl_or_b32 v3, s6, 10, v0
	v_mov_b32_e32 v4, 0
	v_lshlrev_b64 v[5:6], 2, v[3:4]
	s_waitcnt lgkmcnt(0)
	v_mov_b32_e32 v3, s25
	v_add_co_u32_e32 v7, vcc, s24, v5
	v_addc_co_u32_e32 v8, vcc, v3, v6, vcc
	global_load_dword v8, v[7:8], off
	s_mov_b32 s0, 0
	s_mov_b32 s1, s0
	v_mov_b32_e32 v13, s1
	s_mov_b32 s2, s0
	s_mov_b32 s3, s0
	v_mov_b32_e32 v12, s0
	s_lshr_b32 s0, s7, 16
	s_and_b32 s1, s7, 0xffff
	v_mad_u32_u24 v1, v2, s0, v1
	v_mad_u64_u32 v[1:2], s[0:1], v1, s1, v[0:1]
	v_mov_b32_e32 v24, s3
	v_lshlrev_b32_e32 v9, 2, v0
	v_lshlrev_b32_e32 v10, 4, v0
	v_mov_b32_e32 v23, s2
	v_lshrrev_b32_e32 v1, 6, v1
	ds_write_b32 v9, v4 offset:16448
	s_waitcnt vmcnt(0) lgkmcnt(0)
	s_barrier
	ds_write2_b64 v10, v[12:13], v[23:24] offset0:8 offset1:9
	v_lshlrev_b32_e32 v13, 2, v1
	v_mbcnt_lo_u32_b32 v3, -1, 0
	v_mbcnt_hi_u32_b32 v16, -1, v3
	v_mov_b32_e32 v11, v4
	v_mov_b32_e32 v14, v4
	;; [unrolled: 1-line block ×5, first 2 shown]
	s_waitcnt lgkmcnt(0)
	s_barrier
	; wave barrier
	v_and_b32_e32 v1, 0xff, v8
	v_and_b32_e32 v2, 1, v8
	v_lshl_add_u32 v17, v1, 6, v13
	v_add_co_u32_e32 v1, vcc, -1, v2
	v_lshlrev_b32_e32 v12, 30, v8
	v_addc_co_u32_e64 v3, s[0:1], 0, -1, vcc
	v_lshlrev_b32_e32 v15, 29, v8
	v_cmp_ne_u32_e32 vcc, 0, v2
	v_cmp_gt_i64_e64 s[0:1], 0, v[11:12]
	v_not_b32_e32 v2, v12
	v_lshlrev_b32_e32 v19, 28, v8
	v_cmp_gt_i64_e64 s[2:3], 0, v[14:15]
	v_not_b32_e32 v7, v15
	v_xor_b32_e32 v3, vcc_hi, v3
	v_xor_b32_e32 v1, vcc_lo, v1
	v_ashrrev_i32_e32 v2, 31, v2
	v_lshlrev_b32_e32 v21, 27, v8
	v_cmp_gt_i64_e64 s[4:5], 0, v[18:19]
	v_not_b32_e32 v11, v19
	v_ashrrev_i32_e32 v7, 31, v7
	v_and_b32_e32 v3, exec_hi, v3
	v_and_b32_e32 v1, exec_lo, v1
	v_xor_b32_e32 v15, s1, v2
	v_xor_b32_e32 v2, s0, v2
	v_lshlrev_b32_e32 v23, 26, v8
	v_cmp_gt_i64_e64 s[6:7], 0, v[20:21]
	v_not_b32_e32 v12, v21
	v_ashrrev_i32_e32 v11, 31, v11
	v_xor_b32_e32 v18, s3, v7
	v_xor_b32_e32 v7, s2, v7
	v_and_b32_e32 v3, v3, v15
	v_and_b32_e32 v1, v1, v2
	v_cmp_gt_i64_e64 s[8:9], 0, v[22:23]
	v_not_b32_e32 v14, v23
	v_ashrrev_i32_e32 v12, 31, v12
	v_xor_b32_e32 v19, s5, v11
	v_xor_b32_e32 v11, s4, v11
	v_and_b32_e32 v2, v3, v18
	v_and_b32_e32 v1, v1, v7
	v_ashrrev_i32_e32 v14, 31, v14
	v_xor_b32_e32 v20, s7, v12
	v_xor_b32_e32 v12, s6, v12
	v_and_b32_e32 v2, v2, v19
	v_and_b32_e32 v1, v1, v11
	v_xor_b32_e32 v21, s9, v14
	v_xor_b32_e32 v14, s8, v14
	v_and_b32_e32 v2, v2, v20
	v_and_b32_e32 v1, v1, v12
	;; [unrolled: 1-line block ×4, first 2 shown]
	v_lshlrev_b32_e32 v2, 25, v8
	v_mov_b32_e32 v1, v4
	v_cmp_gt_i64_e32 vcc, 0, v[1:2]
	v_not_b32_e32 v1, v2
	v_ashrrev_i32_e32 v1, 31, v1
	v_xor_b32_e32 v2, vcc_hi, v1
	v_xor_b32_e32 v1, vcc_lo, v1
	v_and_b32_e32 v3, v3, v2
	v_and_b32_e32 v7, v7, v1
	v_lshlrev_b32_e32 v2, 24, v8
	v_mov_b32_e32 v1, v4
	v_cmp_gt_i64_e32 vcc, 0, v[1:2]
	v_not_b32_e32 v1, v2
	v_ashrrev_i32_e32 v1, 31, v1
	v_xor_b32_e32 v2, vcc_hi, v1
	v_xor_b32_e32 v1, vcc_lo, v1
	v_and_b32_e32 v1, v7, v1
	v_and_b32_e32 v2, v3, v2
	v_mbcnt_lo_u32_b32 v3, v1, 0
	v_mbcnt_hi_u32_b32 v18, v2, v3
	v_cmp_ne_u64_e32 vcc, 0, v[1:2]
	v_cmp_eq_u32_e64 s[0:1], 0, v18
	s_and_b64 s[2:3], vcc, s[0:1]
	s_and_saveexec_b64 s[0:1], s[2:3]
; %bb.1:
	v_bcnt_u32_b32 v1, v1, 0
	v_bcnt_u32_b32 v1, v2, v1
	ds_write_b32 v17, v1 offset:64
; %bb.2:
	s_or_b64 exec, exec, s[0:1]
	v_and_b32_e32 v1, 16, v16
	v_cmp_eq_u32_e64 s[8:9], 0, v1
	; wave barrier
	s_waitcnt lgkmcnt(0)
	s_barrier
	ds_read2_b64 v[1:4], v10 offset0:8 offset1:9
	v_and_b32_e32 v11, 15, v16
	v_cmp_eq_u32_e64 s[0:1], 0, v11
	v_cmp_lt_u32_e64 s[2:3], 1, v11
	v_cmp_lt_u32_e64 s[4:5], 3, v11
	s_waitcnt lgkmcnt(0)
	v_add_u32_e32 v15, v2, v1
	v_add3_u32 v4, v15, v3, v4
	v_cmp_lt_u32_e64 s[6:7], 7, v11
	v_bfe_i32 v14, v16, 4, 1
	v_mov_b32_dpp v15, v4 row_shr:1 row_mask:0xf bank_mask:0xf
	v_cndmask_b32_e64 v15, v15, 0, s[0:1]
	v_add_u32_e32 v4, v15, v4
	v_and_b32_e32 v12, 63, v0
	v_cmp_lt_u32_e64 s[20:21], 31, v16
	v_mov_b32_dpp v15, v4 row_shr:2 row_mask:0xf bank_mask:0xf
	v_cndmask_b32_e64 v15, 0, v15, s[2:3]
	v_add_u32_e32 v4, v4, v15
	v_cmp_eq_u32_e64 s[10:11], 63, v12
	v_lshrrev_b32_e32 v12, 4, v0
	v_mov_b32_dpp v15, v4 row_shr:4 row_mask:0xf bank_mask:0xf
	v_cndmask_b32_e64 v15, 0, v15, s[4:5]
	v_add_u32_e32 v4, v4, v15
	v_mul_i32_i24_e32 v7, -12, v0
	v_and_b32_e32 v12, 60, v12
	v_mov_b32_dpp v15, v4 row_shr:8 row_mask:0xf bank_mask:0xf
	v_cndmask_b32_e64 v11, 0, v15, s[6:7]
	v_add_u32_e32 v4, v4, v11
	s_nop 1
	v_mov_b32_dpp v11, v4 row_bcast:15 row_mask:0xf bank_mask:0xf
	v_and_b32_e32 v11, v14, v11
	v_add_u32_e32 v4, v4, v11
	s_nop 1
	v_mov_b32_dpp v11, v4 row_bcast:31 row_mask:0xf bank_mask:0xf
	v_cndmask_b32_e64 v11, 0, v11, s[20:21]
	v_add_u32_e32 v4, v4, v11
	s_and_saveexec_b64 s[12:13], s[10:11]
; %bb.3:
	ds_write_b32 v12, v4
; %bb.4:
	s_or_b64 exec, exec, s[12:13]
	v_cmp_gt_u32_e64 s[16:17], 16, v0
	v_add_u32_e32 v11, v10, v7
	s_waitcnt lgkmcnt(0)
	s_barrier
	s_and_saveexec_b64 s[12:13], s[16:17]
	s_cbranch_execz .LBB14_6
; %bb.5:
	ds_read_b32 v7, v11
	s_waitcnt lgkmcnt(0)
	s_nop 0
	v_mov_b32_dpp v14, v7 row_shr:1 row_mask:0xf bank_mask:0xf
	v_cndmask_b32_e64 v14, v14, 0, s[0:1]
	v_add_u32_e32 v7, v14, v7
	s_nop 1
	v_mov_b32_dpp v14, v7 row_shr:2 row_mask:0xf bank_mask:0xf
	v_cndmask_b32_e64 v14, 0, v14, s[2:3]
	v_add_u32_e32 v7, v7, v14
	;; [unrolled: 4-line block ×4, first 2 shown]
	ds_write_b32 v11, v7
.LBB14_6:
	s_or_b64 exec, exec, s[12:13]
	v_subrev_co_u32_e64 v15, s[14:15], 1, v16
	v_cmp_lt_u32_e64 s[18:19], 63, v0
	v_add_u32_e32 v14, -4, v12
	v_mov_b32_e32 v7, 0
	v_mov_b32_e32 v19, 0
	s_waitcnt lgkmcnt(0)
	s_barrier
	s_and_saveexec_b64 s[12:13], s[18:19]
; %bb.7:
	ds_read_b32 v19, v14
; %bb.8:
	s_or_b64 exec, exec, s[12:13]
	v_and_b32_e32 v20, 64, v16
	v_cmp_lt_i32_e32 vcc, v15, v20
	v_cndmask_b32_e32 v15, v15, v16, vcc
	v_lshlrev_b32_e32 v15, 2, v15
	s_waitcnt lgkmcnt(0)
	v_add_u32_e32 v4, v19, v4
	ds_bpermute_b32 v4, v15, v4
	v_and_b32_e32 v20, 0x3c0, v0
	v_cmp_eq_u32_e32 vcc, 0, v0
	v_lshlrev_b32_e32 v20, 2, v20
	v_lshl_add_u32 v16, v16, 2, v20
	s_waitcnt lgkmcnt(0)
	v_cndmask_b32_e64 v4, v4, v19, s[14:15]
	v_cndmask_b32_e64 v19, v4, 0, vcc
	v_add_u32_e32 v20, v19, v1
	v_add_u32_e32 v1, v20, v2
	;; [unrolled: 1-line block ×3, first 2 shown]
	ds_write2_b64 v10, v[19:20], v[1:2] offset0:8 offset1:9
	s_waitcnt lgkmcnt(0)
	s_barrier
	ds_read_b32 v1, v17 offset:64
	v_lshlrev_b32_e32 v2, 2, v18
	s_waitcnt lgkmcnt(0)
	s_barrier
	v_lshl_add_u32 v1, v1, 2, v2
	ds_write_b32 v1, v8
	s_waitcnt lgkmcnt(0)
	s_barrier
	ds_read_b32 v17, v16
	s_mov_b32 s22, 0
	s_mov_b32 s24, s22
	;; [unrolled: 1-line block ×4, first 2 shown]
	v_mov_b32_e32 v1, s22
	v_mov_b32_e32 v3, s24
	;; [unrolled: 1-line block ×4, first 2 shown]
	s_waitcnt lgkmcnt(0)
	s_barrier
	ds_write2_b64 v10, v[1:2], v[3:4] offset0:8 offset1:9
	v_lshrrev_b32_e32 v1, 8, v17
	v_and_b32_e32 v2, 0xff, v1
	v_lshl_add_u32 v18, v2, 6, v13
	v_and_b32_e32 v2, 1, v1
	v_add_co_u32_e64 v3, s[22:23], -1, v2
	v_addc_co_u32_e64 v4, s[22:23], 0, -1, s[22:23]
	v_cmp_ne_u32_e64 s[22:23], 0, v2
	v_lshlrev_b32_e32 v8, 30, v1
	v_xor_b32_e32 v2, s23, v4
	v_xor_b32_e32 v3, s22, v3
	v_cmp_gt_i64_e64 s[22:23], 0, v[7:8]
	v_not_b32_e32 v4, v8
	v_ashrrev_i32_e32 v4, 31, v4
	v_and_b32_e32 v2, exec_hi, v2
	v_xor_b32_e32 v8, s23, v4
	v_and_b32_e32 v3, exec_lo, v3
	v_xor_b32_e32 v4, s22, v4
	v_and_b32_e32 v2, v2, v8
	v_lshlrev_b32_e32 v8, 29, v1
	v_and_b32_e32 v3, v3, v4
	v_cmp_gt_i64_e64 s[22:23], 0, v[7:8]
	v_not_b32_e32 v4, v8
	v_ashrrev_i32_e32 v4, 31, v4
	v_xor_b32_e32 v8, s23, v4
	v_xor_b32_e32 v4, s22, v4
	v_and_b32_e32 v2, v2, v8
	v_lshlrev_b32_e32 v8, 28, v1
	v_and_b32_e32 v3, v3, v4
	v_cmp_gt_i64_e64 s[22:23], 0, v[7:8]
	v_not_b32_e32 v4, v8
	v_ashrrev_i32_e32 v4, 31, v4
	v_xor_b32_e32 v8, s23, v4
	;; [unrolled: 8-line block ×5, first 2 shown]
	v_and_b32_e32 v2, v2, v8
	v_lshlrev_b32_e32 v8, 24, v1
	v_xor_b32_e32 v4, s22, v4
	v_cmp_gt_i64_e64 s[22:23], 0, v[7:8]
	v_not_b32_e32 v1, v8
	v_ashrrev_i32_e32 v1, 31, v1
	v_and_b32_e32 v3, v3, v4
	v_xor_b32_e32 v4, s23, v1
	v_xor_b32_e32 v1, s22, v1
	v_and_b32_e32 v1, v3, v1
	v_and_b32_e32 v2, v2, v4
	v_mbcnt_lo_u32_b32 v3, v1, 0
	v_mbcnt_hi_u32_b32 v8, v2, v3
	v_cmp_ne_u64_e64 s[22:23], 0, v[1:2]
	v_cmp_eq_u32_e64 s[24:25], 0, v8
	v_cmp_ne_u32_e64 s[12:13], 0, v0
	s_and_b64 s[24:25], s[22:23], s[24:25]
	s_waitcnt lgkmcnt(0)
	s_barrier
	; wave barrier
	s_and_saveexec_b64 s[22:23], s[24:25]
; %bb.9:
	v_bcnt_u32_b32 v1, v1, 0
	v_bcnt_u32_b32 v1, v2, v1
	ds_write_b32 v18, v1 offset:64
; %bb.10:
	s_or_b64 exec, exec, s[22:23]
	; wave barrier
	s_waitcnt lgkmcnt(0)
	s_barrier
	ds_read2_b64 v[1:4], v10 offset0:8 offset1:9
	s_waitcnt lgkmcnt(0)
	v_add_u32_e32 v7, v2, v1
	v_add3_u32 v4, v7, v3, v4
	s_nop 1
	v_mov_b32_dpp v7, v4 row_shr:1 row_mask:0xf bank_mask:0xf
	v_cndmask_b32_e64 v7, v7, 0, s[0:1]
	v_add_u32_e32 v4, v7, v4
	s_nop 1
	v_mov_b32_dpp v7, v4 row_shr:2 row_mask:0xf bank_mask:0xf
	v_cndmask_b32_e64 v7, 0, v7, s[2:3]
	v_add_u32_e32 v4, v4, v7
	s_nop 1
	v_mov_b32_dpp v7, v4 row_shr:4 row_mask:0xf bank_mask:0xf
	v_cndmask_b32_e64 v7, 0, v7, s[4:5]
	v_add_u32_e32 v4, v4, v7
	s_nop 1
	v_mov_b32_dpp v7, v4 row_shr:8 row_mask:0xf bank_mask:0xf
	v_cndmask_b32_e64 v7, 0, v7, s[6:7]
	v_add_u32_e32 v4, v4, v7
	s_nop 1
	v_mov_b32_dpp v7, v4 row_bcast:15 row_mask:0xf bank_mask:0xf
	v_cndmask_b32_e64 v7, v7, 0, s[8:9]
	v_add_u32_e32 v4, v4, v7
	s_nop 1
	v_mov_b32_dpp v7, v4 row_bcast:31 row_mask:0xf bank_mask:0xf
	v_cndmask_b32_e64 v7, 0, v7, s[20:21]
	v_add_u32_e32 v4, v4, v7
	s_and_saveexec_b64 s[22:23], s[10:11]
; %bb.11:
	ds_write_b32 v12, v4
; %bb.12:
	s_or_b64 exec, exec, s[22:23]
	s_waitcnt lgkmcnt(0)
	s_barrier
	s_and_saveexec_b64 s[22:23], s[16:17]
	s_cbranch_execz .LBB14_14
; %bb.13:
	ds_read_b32 v7, v11
	s_waitcnt lgkmcnt(0)
	s_nop 0
	v_mov_b32_dpp v19, v7 row_shr:1 row_mask:0xf bank_mask:0xf
	v_cndmask_b32_e64 v19, v19, 0, s[0:1]
	v_add_u32_e32 v7, v19, v7
	s_nop 1
	v_mov_b32_dpp v19, v7 row_shr:2 row_mask:0xf bank_mask:0xf
	v_cndmask_b32_e64 v19, 0, v19, s[2:3]
	v_add_u32_e32 v7, v7, v19
	;; [unrolled: 4-line block ×4, first 2 shown]
	ds_write_b32 v11, v7
.LBB14_14:
	s_or_b64 exec, exec, s[22:23]
	v_mov_b32_e32 v7, 0
	v_mov_b32_e32 v19, 0
	s_waitcnt lgkmcnt(0)
	s_barrier
	s_and_saveexec_b64 s[22:23], s[18:19]
; %bb.15:
	ds_read_b32 v19, v14
; %bb.16:
	s_or_b64 exec, exec, s[22:23]
	s_waitcnt lgkmcnt(0)
	v_add_u32_e32 v4, v19, v4
	ds_bpermute_b32 v4, v15, v4
	s_mov_b32 s22, 0
	s_mov_b32 s24, s22
	s_mov_b32 s23, s22
	s_mov_b32 s25, s22
	s_waitcnt lgkmcnt(0)
	v_cndmask_b32_e64 v4, v4, v19, s[14:15]
	v_cndmask_b32_e64 v19, v4, 0, vcc
	v_add_u32_e32 v20, v19, v1
	v_add_u32_e32 v1, v20, v2
	;; [unrolled: 1-line block ×3, first 2 shown]
	ds_write2_b64 v10, v[19:20], v[1:2] offset0:8 offset1:9
	s_waitcnt lgkmcnt(0)
	s_barrier
	ds_read_b32 v1, v18 offset:64
	v_lshlrev_b32_e32 v2, 2, v8
	s_waitcnt lgkmcnt(0)
	s_barrier
	v_lshl_add_u32 v1, v1, 2, v2
	ds_write_b32 v1, v17
	s_waitcnt lgkmcnt(0)
	s_barrier
	ds_read_b32 v17, v16
	v_mov_b32_e32 v1, s22
	v_mov_b32_e32 v3, s24
	;; [unrolled: 1-line block ×4, first 2 shown]
	s_movk_i32 s22, 0xff
	s_waitcnt lgkmcnt(0)
	s_barrier
	ds_write2_b64 v10, v[1:2], v[3:4] offset0:8 offset1:9
	v_and_b32_sdwa v1, v17, s22 dst_sel:DWORD dst_unused:UNUSED_PAD src0_sel:WORD_1 src1_sel:DWORD
	v_lshl_add_u32 v18, v1, 6, v13
	v_mov_b32_e32 v1, 1
	v_and_b32_sdwa v1, v17, v1 dst_sel:DWORD dst_unused:UNUSED_PAD src0_sel:WORD_1 src1_sel:DWORD
	v_add_co_u32_e64 v2, s[22:23], -1, v1
	v_addc_co_u32_e64 v3, s[22:23], 0, -1, s[22:23]
	v_cmp_ne_u32_e64 s[22:23], 0, v1
	v_xor_b32_e32 v1, s23, v3
	v_mov_b32_e32 v3, 30
	v_lshlrev_b32_sdwa v8, v3, v17 dst_sel:DWORD dst_unused:UNUSED_PAD src0_sel:DWORD src1_sel:WORD_1
	v_xor_b32_e32 v2, s22, v2
	v_cmp_gt_i64_e64 s[22:23], 0, v[7:8]
	v_not_b32_e32 v3, v8
	v_ashrrev_i32_e32 v3, 31, v3
	v_and_b32_e32 v2, exec_lo, v2
	v_xor_b32_e32 v4, s23, v3
	v_xor_b32_e32 v3, s22, v3
	v_and_b32_e32 v2, v2, v3
	v_mov_b32_e32 v3, 29
	v_lshlrev_b32_sdwa v8, v3, v17 dst_sel:DWORD dst_unused:UNUSED_PAD src0_sel:DWORD src1_sel:WORD_1
	v_cmp_gt_i64_e64 s[22:23], 0, v[7:8]
	v_not_b32_e32 v3, v8
	v_and_b32_e32 v1, exec_hi, v1
	v_ashrrev_i32_e32 v3, 31, v3
	v_and_b32_e32 v1, v1, v4
	v_xor_b32_e32 v4, s23, v3
	v_xor_b32_e32 v3, s22, v3
	v_and_b32_e32 v2, v2, v3
	v_mov_b32_e32 v3, 28
	v_lshlrev_b32_sdwa v8, v3, v17 dst_sel:DWORD dst_unused:UNUSED_PAD src0_sel:DWORD src1_sel:WORD_1
	v_cmp_gt_i64_e64 s[22:23], 0, v[7:8]
	v_not_b32_e32 v3, v8
	v_ashrrev_i32_e32 v3, 31, v3
	v_and_b32_e32 v1, v1, v4
	v_xor_b32_e32 v4, s23, v3
	v_xor_b32_e32 v3, s22, v3
	v_and_b32_e32 v2, v2, v3
	v_mov_b32_e32 v3, 27
	v_lshlrev_b32_sdwa v8, v3, v17 dst_sel:DWORD dst_unused:UNUSED_PAD src0_sel:DWORD src1_sel:WORD_1
	v_cmp_gt_i64_e64 s[22:23], 0, v[7:8]
	v_not_b32_e32 v3, v8
	;; [unrolled: 9-line block ×5, first 2 shown]
	v_ashrrev_i32_e32 v2, 31, v2
	v_and_b32_e32 v1, v1, v4
	v_xor_b32_e32 v4, s23, v2
	v_xor_b32_e32 v7, s22, v2
	v_and_b32_e32 v2, v1, v4
	v_and_b32_e32 v1, v3, v7
	v_mbcnt_lo_u32_b32 v3, v1, 0
	v_mbcnt_hi_u32_b32 v8, v2, v3
	v_cmp_ne_u64_e64 s[22:23], 0, v[1:2]
	v_cmp_eq_u32_e64 s[24:25], 0, v8
	s_and_b64 s[24:25], s[22:23], s[24:25]
	s_waitcnt lgkmcnt(0)
	s_barrier
	; wave barrier
	s_and_saveexec_b64 s[22:23], s[24:25]
; %bb.17:
	v_bcnt_u32_b32 v1, v1, 0
	v_bcnt_u32_b32 v1, v2, v1
	ds_write_b32 v18, v1 offset:64
; %bb.18:
	s_or_b64 exec, exec, s[22:23]
	; wave barrier
	s_waitcnt lgkmcnt(0)
	s_barrier
	ds_read2_b64 v[1:4], v10 offset0:8 offset1:9
	s_waitcnt lgkmcnt(0)
	v_add_u32_e32 v7, v2, v1
	v_add3_u32 v4, v7, v3, v4
	s_nop 1
	v_mov_b32_dpp v7, v4 row_shr:1 row_mask:0xf bank_mask:0xf
	v_cndmask_b32_e64 v7, v7, 0, s[0:1]
	v_add_u32_e32 v4, v7, v4
	s_nop 1
	v_mov_b32_dpp v7, v4 row_shr:2 row_mask:0xf bank_mask:0xf
	v_cndmask_b32_e64 v7, 0, v7, s[2:3]
	v_add_u32_e32 v4, v4, v7
	;; [unrolled: 4-line block ×4, first 2 shown]
	s_nop 1
	v_mov_b32_dpp v7, v4 row_bcast:15 row_mask:0xf bank_mask:0xf
	v_cndmask_b32_e64 v7, v7, 0, s[8:9]
	v_add_u32_e32 v4, v4, v7
	s_nop 1
	v_mov_b32_dpp v7, v4 row_bcast:31 row_mask:0xf bank_mask:0xf
	v_cndmask_b32_e64 v7, 0, v7, s[20:21]
	v_add_u32_e32 v4, v4, v7
	s_and_saveexec_b64 s[22:23], s[10:11]
; %bb.19:
	ds_write_b32 v12, v4
; %bb.20:
	s_or_b64 exec, exec, s[22:23]
	s_waitcnt lgkmcnt(0)
	s_barrier
	s_and_saveexec_b64 s[22:23], s[16:17]
	s_cbranch_execz .LBB14_22
; %bb.21:
	ds_read_b32 v7, v11
	s_waitcnt lgkmcnt(0)
	s_nop 0
	v_mov_b32_dpp v19, v7 row_shr:1 row_mask:0xf bank_mask:0xf
	v_cndmask_b32_e64 v19, v19, 0, s[0:1]
	v_add_u32_e32 v7, v19, v7
	s_nop 1
	v_mov_b32_dpp v19, v7 row_shr:2 row_mask:0xf bank_mask:0xf
	v_cndmask_b32_e64 v19, 0, v19, s[2:3]
	v_add_u32_e32 v7, v7, v19
	;; [unrolled: 4-line block ×4, first 2 shown]
	ds_write_b32 v11, v7
.LBB14_22:
	s_or_b64 exec, exec, s[22:23]
	v_mov_b32_e32 v7, 0
	v_mov_b32_e32 v19, 0
	s_waitcnt lgkmcnt(0)
	s_barrier
	s_and_saveexec_b64 s[22:23], s[18:19]
; %bb.23:
	ds_read_b32 v19, v14
; %bb.24:
	s_or_b64 exec, exec, s[22:23]
	s_waitcnt lgkmcnt(0)
	v_add_u32_e32 v4, v19, v4
	ds_bpermute_b32 v4, v15, v4
	s_mov_b32 s22, 0
	s_mov_b32 s24, s22
	;; [unrolled: 1-line block ×4, first 2 shown]
	s_waitcnt lgkmcnt(0)
	v_cndmask_b32_e64 v4, v4, v19, s[14:15]
	v_cndmask_b32_e64 v19, v4, 0, vcc
	v_add_u32_e32 v20, v19, v1
	v_add_u32_e32 v1, v20, v2
	;; [unrolled: 1-line block ×3, first 2 shown]
	ds_write2_b64 v10, v[19:20], v[1:2] offset0:8 offset1:9
	s_waitcnt lgkmcnt(0)
	s_barrier
	ds_read_b32 v1, v18 offset:64
	v_lshlrev_b32_e32 v2, 2, v8
	s_waitcnt lgkmcnt(0)
	s_barrier
	v_lshl_add_u32 v1, v1, 2, v2
	ds_write_b32 v1, v17
	s_waitcnt lgkmcnt(0)
	s_barrier
	ds_read_b32 v16, v16
	v_mov_b32_e32 v1, s22
	v_mov_b32_e32 v3, s24
	;; [unrolled: 1-line block ×4, first 2 shown]
	s_waitcnt lgkmcnt(0)
	s_barrier
	ds_write2_b64 v10, v[1:2], v[3:4] offset0:8 offset1:9
	v_lshrrev_b32_e32 v1, 24, v16
	v_and_b32_e32 v2, 1, v1
	v_add_co_u32_e64 v3, s[22:23], -1, v2
	v_addc_co_u32_e64 v4, s[22:23], 0, -1, s[22:23]
	v_cmp_ne_u32_e64 s[22:23], 0, v2
	v_lshlrev_b32_e32 v8, 30, v1
	v_xor_b32_e32 v2, s23, v4
	v_xor_b32_e32 v3, s22, v3
	v_cmp_gt_i64_e64 s[22:23], 0, v[7:8]
	v_not_b32_e32 v4, v8
	v_ashrrev_i32_e32 v4, 31, v4
	v_and_b32_e32 v2, exec_hi, v2
	v_xor_b32_e32 v8, s23, v4
	v_and_b32_e32 v3, exec_lo, v3
	v_xor_b32_e32 v4, s22, v4
	v_and_b32_e32 v2, v2, v8
	v_lshlrev_b32_e32 v8, 29, v1
	v_and_b32_e32 v3, v3, v4
	v_cmp_gt_i64_e64 s[22:23], 0, v[7:8]
	v_not_b32_e32 v4, v8
	v_ashrrev_i32_e32 v4, 31, v4
	v_xor_b32_e32 v8, s23, v4
	v_xor_b32_e32 v4, s22, v4
	v_and_b32_e32 v2, v2, v8
	v_lshlrev_b32_e32 v8, 28, v1
	v_and_b32_e32 v3, v3, v4
	v_cmp_gt_i64_e64 s[22:23], 0, v[7:8]
	v_not_b32_e32 v4, v8
	v_ashrrev_i32_e32 v4, 31, v4
	v_xor_b32_e32 v8, s23, v4
	;; [unrolled: 8-line block ×5, first 2 shown]
	v_and_b32_e32 v2, v2, v8
	v_lshlrev_b32_e32 v8, 24, v1
	v_lshl_add_u32 v13, v1, 6, v13
	v_xor_b32_e32 v4, s22, v4
	v_cmp_gt_i64_e64 s[22:23], 0, v[7:8]
	v_not_b32_e32 v1, v8
	v_ashrrev_i32_e32 v1, 31, v1
	v_and_b32_e32 v3, v3, v4
	v_xor_b32_e32 v4, s23, v1
	v_xor_b32_e32 v1, s22, v1
	v_and_b32_e32 v1, v3, v1
	v_and_b32_e32 v2, v2, v4
	v_mbcnt_lo_u32_b32 v3, v1, 0
	v_mbcnt_hi_u32_b32 v7, v2, v3
	v_cmp_ne_u64_e64 s[22:23], 0, v[1:2]
	v_cmp_eq_u32_e64 s[24:25], 0, v7
	s_and_b64 s[24:25], s[22:23], s[24:25]
	s_waitcnt lgkmcnt(0)
	s_barrier
	; wave barrier
	s_and_saveexec_b64 s[22:23], s[24:25]
; %bb.25:
	v_bcnt_u32_b32 v1, v1, 0
	v_bcnt_u32_b32 v1, v2, v1
	ds_write_b32 v13, v1 offset:64
; %bb.26:
	s_or_b64 exec, exec, s[22:23]
	; wave barrier
	s_waitcnt lgkmcnt(0)
	s_barrier
	ds_read2_b64 v[1:4], v10 offset0:8 offset1:9
	s_waitcnt lgkmcnt(0)
	v_add_u32_e32 v8, v2, v1
	v_add3_u32 v4, v8, v3, v4
	s_nop 1
	v_mov_b32_dpp v8, v4 row_shr:1 row_mask:0xf bank_mask:0xf
	v_cndmask_b32_e64 v8, v8, 0, s[0:1]
	v_add_u32_e32 v4, v8, v4
	s_nop 1
	v_mov_b32_dpp v8, v4 row_shr:2 row_mask:0xf bank_mask:0xf
	v_cndmask_b32_e64 v8, 0, v8, s[2:3]
	v_add_u32_e32 v4, v4, v8
	;; [unrolled: 4-line block ×4, first 2 shown]
	s_nop 1
	v_mov_b32_dpp v8, v4 row_bcast:15 row_mask:0xf bank_mask:0xf
	v_cndmask_b32_e64 v8, v8, 0, s[8:9]
	v_add_u32_e32 v4, v4, v8
	s_nop 1
	v_mov_b32_dpp v8, v4 row_bcast:31 row_mask:0xf bank_mask:0xf
	v_cndmask_b32_e64 v8, 0, v8, s[20:21]
	v_add_u32_e32 v4, v4, v8
	s_and_saveexec_b64 s[8:9], s[10:11]
; %bb.27:
	ds_write_b32 v12, v4
; %bb.28:
	s_or_b64 exec, exec, s[8:9]
	s_waitcnt lgkmcnt(0)
	s_barrier
	s_and_saveexec_b64 s[8:9], s[16:17]
	s_cbranch_execz .LBB14_30
; %bb.29:
	ds_read_b32 v8, v11
	s_waitcnt lgkmcnt(0)
	s_nop 0
	v_mov_b32_dpp v12, v8 row_shr:1 row_mask:0xf bank_mask:0xf
	v_cndmask_b32_e64 v12, v12, 0, s[0:1]
	v_add_u32_e32 v8, v12, v8
	s_nop 1
	v_mov_b32_dpp v12, v8 row_shr:2 row_mask:0xf bank_mask:0xf
	v_cndmask_b32_e64 v12, 0, v12, s[2:3]
	v_add_u32_e32 v8, v8, v12
	;; [unrolled: 4-line block ×4, first 2 shown]
	ds_write_b32 v11, v8
.LBB14_30:
	s_or_b64 exec, exec, s[8:9]
	v_mov_b32_e32 v8, 0
	s_waitcnt lgkmcnt(0)
	s_barrier
	s_and_saveexec_b64 s[0:1], s[18:19]
; %bb.31:
	ds_read_b32 v8, v14
; %bb.32:
	s_or_b64 exec, exec, s[0:1]
	s_waitcnt lgkmcnt(0)
	v_add_u32_e32 v4, v8, v4
	ds_bpermute_b32 v4, v15, v4
	s_waitcnt lgkmcnt(0)
	v_cndmask_b32_e64 v4, v4, v8, s[14:15]
	v_cndmask_b32_e64 v14, v4, 0, vcc
	v_add_u32_e32 v15, v14, v1
	v_add_u32_e32 v1, v15, v2
	;; [unrolled: 1-line block ×3, first 2 shown]
	ds_write2_b64 v10, v[14:15], v[1:2] offset0:8 offset1:9
	s_waitcnt lgkmcnt(0)
	s_barrier
	ds_read_b32 v1, v13 offset:64
	v_lshlrev_b32_e32 v2, 2, v7
	s_waitcnt lgkmcnt(0)
	s_barrier
	v_lshl_add_u32 v1, v1, 2, v2
	ds_write_b32 v1, v16
	s_waitcnt lgkmcnt(0)
	s_barrier
	ds_read_b32 v1, v11
	v_mov_b32_e32 v2, 0x400
	s_waitcnt lgkmcnt(0)
	s_barrier
	ds_write2st64_b32 v9, v2, v2 offset0:32 offset1:48
	s_waitcnt lgkmcnt(0)
	s_barrier
	ds_write_b32 v11, v1
	s_waitcnt lgkmcnt(0)
	s_barrier
	s_and_saveexec_b64 s[2:3], s[12:13]
	s_cbranch_execz .LBB14_35
; %bb.33:
	v_add_u32_e32 v2, -4, v11
	ds_read_b32 v2, v2
	s_waitcnt lgkmcnt(0)
	v_cmp_ne_u32_e64 s[0:1], v2, v1
	s_and_b64 exec, exec, s[0:1]
	s_cbranch_execz .LBB14_35
; %bb.34:
	v_lshlrev_b32_e32 v3, 2, v1
	v_lshlrev_b32_e32 v2, 2, v2
	ds_write_b32 v3, v0 offset:8192
	ds_write_b32 v2, v0 offset:12288
.LBB14_35:
	s_or_b64 exec, exec, s[2:3]
	v_add_u32_e32 v0, 0x4040, v9
	s_waitcnt lgkmcnt(0)
	s_barrier
	s_and_saveexec_b64 s[0:1], vcc
; %bb.36:
	v_lshlrev_b32_e32 v1, 2, v1
	v_mov_b32_e32 v2, 0
	ds_write_b32 v1, v2 offset:8192
; %bb.37:
	s_or_b64 exec, exec, s[0:1]
	s_waitcnt lgkmcnt(0)
	s_barrier
	ds_read2st64_b32 v[1:2], v9 offset0:32 offset1:48
	ds_read_b32 v3, v0
	s_waitcnt lgkmcnt(1)
	v_sub_u32_e32 v1, v2, v1
	s_waitcnt lgkmcnt(0)
	v_add_u32_e32 v1, v1, v3
	ds_write_b32 v0, v1
	s_waitcnt lgkmcnt(0)
	s_barrier
	ds_read_b32 v2, v0
	v_mov_b32_e32 v1, s27
	v_add_co_u32_e32 v0, vcc, s26, v5
	v_addc_co_u32_e32 v1, vcc, v1, v6, vcc
	s_waitcnt lgkmcnt(0)
	global_store_dword v[0:1], v2, off
	s_endpgm
	.section	.rodata,"a",@progbits
	.p2align	6, 0x0
	.amdhsa_kernel _Z16histogram_kernelILj1024ELj1ELj1024ELN6hipcub23BlockHistogramAlgorithmE1EjEvPT3_S3_
		.amdhsa_group_segment_fixed_size 20544
		.amdhsa_private_segment_fixed_size 0
		.amdhsa_kernarg_size 272
		.amdhsa_user_sgpr_count 6
		.amdhsa_user_sgpr_private_segment_buffer 1
		.amdhsa_user_sgpr_dispatch_ptr 0
		.amdhsa_user_sgpr_queue_ptr 0
		.amdhsa_user_sgpr_kernarg_segment_ptr 1
		.amdhsa_user_sgpr_dispatch_id 0
		.amdhsa_user_sgpr_flat_scratch_init 0
		.amdhsa_user_sgpr_private_segment_size 0
		.amdhsa_uses_dynamic_stack 0
		.amdhsa_system_sgpr_private_segment_wavefront_offset 0
		.amdhsa_system_sgpr_workgroup_id_x 1
		.amdhsa_system_sgpr_workgroup_id_y 0
		.amdhsa_system_sgpr_workgroup_id_z 0
		.amdhsa_system_sgpr_workgroup_info 0
		.amdhsa_system_vgpr_workitem_id 2
		.amdhsa_next_free_vgpr 29
		.amdhsa_next_free_sgpr 61
		.amdhsa_reserve_vcc 1
		.amdhsa_reserve_flat_scratch 0
		.amdhsa_float_round_mode_32 0
		.amdhsa_float_round_mode_16_64 0
		.amdhsa_float_denorm_mode_32 3
		.amdhsa_float_denorm_mode_16_64 3
		.amdhsa_dx10_clamp 1
		.amdhsa_ieee_mode 1
		.amdhsa_fp16_overflow 0
		.amdhsa_exception_fp_ieee_invalid_op 0
		.amdhsa_exception_fp_denorm_src 0
		.amdhsa_exception_fp_ieee_div_zero 0
		.amdhsa_exception_fp_ieee_overflow 0
		.amdhsa_exception_fp_ieee_underflow 0
		.amdhsa_exception_fp_ieee_inexact 0
		.amdhsa_exception_int_div_zero 0
	.end_amdhsa_kernel
	.section	.text._Z16histogram_kernelILj1024ELj1ELj1024ELN6hipcub23BlockHistogramAlgorithmE1EjEvPT3_S3_,"axG",@progbits,_Z16histogram_kernelILj1024ELj1ELj1024ELN6hipcub23BlockHistogramAlgorithmE1EjEvPT3_S3_,comdat
.Lfunc_end14:
	.size	_Z16histogram_kernelILj1024ELj1ELj1024ELN6hipcub23BlockHistogramAlgorithmE1EjEvPT3_S3_, .Lfunc_end14-_Z16histogram_kernelILj1024ELj1ELj1024ELN6hipcub23BlockHistogramAlgorithmE1EjEvPT3_S3_
                                        ; -- End function
	.set _Z16histogram_kernelILj1024ELj1ELj1024ELN6hipcub23BlockHistogramAlgorithmE1EjEvPT3_S3_.num_vgpr, 25
	.set _Z16histogram_kernelILj1024ELj1ELj1024ELN6hipcub23BlockHistogramAlgorithmE1EjEvPT3_S3_.num_agpr, 0
	.set _Z16histogram_kernelILj1024ELj1ELj1024ELN6hipcub23BlockHistogramAlgorithmE1EjEvPT3_S3_.numbered_sgpr, 28
	.set _Z16histogram_kernelILj1024ELj1ELj1024ELN6hipcub23BlockHistogramAlgorithmE1EjEvPT3_S3_.num_named_barrier, 0
	.set _Z16histogram_kernelILj1024ELj1ELj1024ELN6hipcub23BlockHistogramAlgorithmE1EjEvPT3_S3_.private_seg_size, 0
	.set _Z16histogram_kernelILj1024ELj1ELj1024ELN6hipcub23BlockHistogramAlgorithmE1EjEvPT3_S3_.uses_vcc, 1
	.set _Z16histogram_kernelILj1024ELj1ELj1024ELN6hipcub23BlockHistogramAlgorithmE1EjEvPT3_S3_.uses_flat_scratch, 0
	.set _Z16histogram_kernelILj1024ELj1ELj1024ELN6hipcub23BlockHistogramAlgorithmE1EjEvPT3_S3_.has_dyn_sized_stack, 0
	.set _Z16histogram_kernelILj1024ELj1ELj1024ELN6hipcub23BlockHistogramAlgorithmE1EjEvPT3_S3_.has_recursion, 0
	.set _Z16histogram_kernelILj1024ELj1ELj1024ELN6hipcub23BlockHistogramAlgorithmE1EjEvPT3_S3_.has_indirect_call, 0
	.section	.AMDGPU.csdata,"",@progbits
; Kernel info:
; codeLenInByte = 4244
; TotalNumSgprs: 32
; NumVgprs: 25
; ScratchSize: 0
; MemoryBound: 0
; FloatMode: 240
; IeeeMode: 1
; LDSByteSize: 20544 bytes/workgroup (compile time only)
; SGPRBlocks: 8
; VGPRBlocks: 7
; NumSGPRsForWavesPerEU: 65
; NumVGPRsForWavesPerEU: 29
; Occupancy: 8
; WaveLimiterHint : 0
; COMPUTE_PGM_RSRC2:SCRATCH_EN: 0
; COMPUTE_PGM_RSRC2:USER_SGPR: 6
; COMPUTE_PGM_RSRC2:TRAP_HANDLER: 0
; COMPUTE_PGM_RSRC2:TGID_X_EN: 1
; COMPUTE_PGM_RSRC2:TGID_Y_EN: 0
; COMPUTE_PGM_RSRC2:TGID_Z_EN: 0
; COMPUTE_PGM_RSRC2:TIDIG_COMP_CNT: 2
	.section	.text._Z16histogram_kernelILj512ELj4ELj512ELN6hipcub23BlockHistogramAlgorithmE1EjEvPT3_S3_,"axG",@progbits,_Z16histogram_kernelILj512ELj4ELj512ELN6hipcub23BlockHistogramAlgorithmE1EjEvPT3_S3_,comdat
	.protected	_Z16histogram_kernelILj512ELj4ELj512ELN6hipcub23BlockHistogramAlgorithmE1EjEvPT3_S3_ ; -- Begin function _Z16histogram_kernelILj512ELj4ELj512ELN6hipcub23BlockHistogramAlgorithmE1EjEvPT3_S3_
	.globl	_Z16histogram_kernelILj512ELj4ELj512ELN6hipcub23BlockHistogramAlgorithmE1EjEvPT3_S3_
	.p2align	8
	.type	_Z16histogram_kernelILj512ELj4ELj512ELN6hipcub23BlockHistogramAlgorithmE1EjEvPT3_S3_,@function
_Z16histogram_kernelILj512ELj4ELj512ELN6hipcub23BlockHistogramAlgorithmE1EjEvPT3_S3_: ; @_Z16histogram_kernelILj512ELj4ELj512ELN6hipcub23BlockHistogramAlgorithmE1EjEvPT3_S3_
; %bb.0:
	s_load_dwordx4 s[36:39], s[4:5], 0x0
	v_lshlrev_b32_e32 v15, 2, v0
	v_mov_b32_e32 v7, 0
	v_lshl_or_b32 v3, s6, 11, v15
	v_mov_b32_e32 v4, v7
	v_lshlrev_b64 v[3:4], 2, v[3:4]
	s_waitcnt lgkmcnt(0)
	v_mov_b32_e32 v5, s37
	v_add_co_u32_e32 v3, vcc, s36, v3
	v_addc_co_u32_e32 v4, vcc, v5, v4, vcc
	global_load_dwordx4 v[3:6], v[3:4], off
	s_movk_i32 s0, 0x200
	v_cmp_gt_u32_e64 s[0:1], s0, v0
	s_and_saveexec_b64 s[2:3], s[0:1]
; %bb.1:
	v_mov_b32_e32 v8, 0
	ds_write_b32 v15, v8 offset:8224
; %bb.2:
	s_or_b64 exec, exec, s[2:3]
	v_mbcnt_lo_u32_b32 v8, -1, 0
	v_mbcnt_hi_u32_b32 v8, -1, v8
	v_lshrrev_b32_e32 v9, 2, v8
	v_and_b32_e32 v10, 64, v8
	v_or_b32_e32 v11, v9, v10
	v_lshlrev_b32_e32 v12, 2, v11
	s_waitcnt vmcnt(0)
	ds_bpermute_b32 v11, v12, v3
	ds_bpermute_b32 v14, v12, v4
	;; [unrolled: 1-line block ×3, first 2 shown]
	v_and_b32_e32 v13, 3, v8
	v_cmp_eq_u32_e32 vcc, 0, v13
	s_waitcnt lgkmcnt(2)
	v_cndmask_b32_e32 v11, 0, v11, vcc
	v_cmp_eq_u32_e64 s[2:3], 1, v13
	s_waitcnt lgkmcnt(1)
	v_cndmask_b32_e64 v11, v11, v14, s[2:3]
	v_cmp_eq_u32_e64 s[8:9], 2, v13
	s_waitcnt lgkmcnt(0)
	v_cndmask_b32_e64 v11, v11, v16, s[8:9]
	ds_bpermute_b32 v14, v12, v6
	ds_bpermute_b32 v16, v12, v3 offset:64
	ds_bpermute_b32 v17, v12, v4 offset:64
	v_add_u32_e32 v9, 48, v9
	v_and_or_b32 v9, v9, 63, v10
	ds_bpermute_b32 v18, v12, v5 offset:64
	v_cmp_eq_u32_e64 s[10:11], 3, v13
	v_lshlrev_b32_e32 v9, 2, v9
	s_waitcnt lgkmcnt(3)
	v_cndmask_b32_e64 v11, v11, v14, s[10:11]
	s_waitcnt lgkmcnt(2)
	v_cndmask_b32_e32 v13, 0, v16, vcc
	ds_bpermute_b32 v14, v12, v6 offset:64
	ds_bpermute_b32 v16, v12, v3 offset:128
	ds_bpermute_b32 v3, v9, v3
	s_waitcnt lgkmcnt(0)
	s_barrier
	v_cndmask_b32_e64 v13, v13, v17, s[2:3]
	ds_bpermute_b32 v17, v12, v4 offset:128
	ds_bpermute_b32 v4, v9, v4
	s_waitcnt lgkmcnt(0)
	s_barrier
	s_load_dword s4, s[4:5], 0x1c
	v_cndmask_b32_e64 v13, v13, v18, s[8:9]
	ds_bpermute_b32 v18, v12, v5 offset:128
	ds_bpermute_b32 v5, v9, v5
	ds_bpermute_b32 v19, v12, v6 offset:128
	v_cndmask_b32_e64 v12, v13, v14, s[10:11]
	v_cndmask_b32_e32 v13, 0, v16, vcc
	ds_bpermute_b32 v6, v9, v6
	v_cndmask_b32_e32 v3, 0, v3, vcc
	v_cndmask_b32_e64 v13, v13, v17, s[2:3]
	v_cndmask_b32_e64 v3, v3, v4, s[2:3]
	s_waitcnt lgkmcnt(0)
	s_lshr_b32 s2, s4, 16
	s_and_b32 s3, s4, 0xffff
	v_mad_u32_u24 v1, v2, s2, v1
	v_mad_u64_u32 v[1:2], s[2:3], v1, s3, v[0:1]
	v_cndmask_b32_e64 v13, v13, v18, s[8:9]
	v_cndmask_b32_e64 v3, v3, v5, s[8:9]
	v_and_b32_e32 v2, 15, v8
	v_cndmask_b32_e64 v13, v13, v19, s[10:11]
	v_cndmask_b32_e64 v14, v3, v6, s[10:11]
	v_cmp_eq_u32_e64 s[34:35], 0, v2
	v_cmp_lt_u32_e64 s[8:9], 1, v2
	v_cmp_lt_u32_e64 s[10:11], 3, v2
	v_cmp_lt_u32_e64 s[12:13], 7, v2
	v_and_b32_e32 v2, 16, v8
	v_cmp_eq_u32_e64 s[14:15], 0, v2
	v_or_b32_e32 v2, 63, v0
	v_cmp_eq_u32_e64 s[18:19], v0, v2
	v_subrev_co_u32_e64 v2, s[24:25], 1, v8
	v_cmp_lt_i32_e32 vcc, v2, v10
	v_cndmask_b32_e32 v2, v2, v8, vcc
	s_mov_b32 s36, 0
	v_lshlrev_b32_e32 v18, 2, v2
	v_lshrrev_b32_e32 v2, 4, v0
	v_and_b32_e32 v19, 28, v2
	v_and_b32_e32 v2, 7, v8
	s_movk_i32 s7, 0x700
	s_mov_b32 s40, s36
	v_lshlrev_b32_e32 v17, 2, v15
	v_cmp_eq_u32_e64 s[26:27], 0, v2
	v_cmp_lt_u32_e64 s[28:29], 1, v2
	v_cmp_lt_u32_e64 s[30:31], 3, v2
	v_and_or_b32 v2, v15, s7, v8
	v_lshrrev_b32_e32 v1, 4, v1
	s_mov_b32 s37, s36
	s_mov_b32 s41, s36
	v_mov_b32_e32 v5, s36
	v_mov_b32_e32 v9, s40
	v_cmp_lt_u32_e64 s[16:17], 31, v8
	v_cmp_gt_u32_e64 s[20:21], 8, v0
	v_cmp_lt_u32_e64 s[22:23], 63, v0
	v_cmp_eq_u32_e64 s[2:3], 0, v0
	v_cmp_ne_u32_e64 s[4:5], 0, v0
	v_mad_i32_i24 v16, v0, -12, v17
	v_add_u32_e32 v20, -4, v19
	v_lshlrev_b32_e32 v21, 2, v2
	v_and_b32_e32 v22, 0xffffffc, v1
	v_mov_b32_e32 v6, s37
	v_mov_b32_e32 v10, s41
	;; [unrolled: 1-line block ×4, first 2 shown]
	s_branch .LBB15_4
.LBB15_3:                               ;   in Loop: Header=BB15_4 Depth=1
	s_andn2_b64 vcc, exec, s[36:37]
	s_cbranch_vccz .LBB15_20
.LBB15_4:                               ; =>This Inner Loop Header: Depth=1
	v_mov_b32_e32 v28, v11
	v_lshrrev_b32_e32 v1, v26, v28
	v_and_b32_e32 v2, 1, v1
	v_add_co_u32_e32 v4, vcc, -1, v2
	v_addc_co_u32_e64 v8, s[36:37], 0, -1, vcc
	v_cmp_ne_u32_e32 vcc, 0, v2
	v_xor_b32_e32 v2, vcc_hi, v8
	v_lshlrev_b32_e32 v8, 30, v1
	v_xor_b32_e32 v4, vcc_lo, v4
	v_cmp_gt_i64_e32 vcc, 0, v[7:8]
	v_not_b32_e32 v8, v8
	v_ashrrev_i32_e32 v8, 31, v8
	v_and_b32_e32 v4, exec_lo, v4
	v_xor_b32_e32 v11, vcc_hi, v8
	v_xor_b32_e32 v8, vcc_lo, v8
	v_and_b32_e32 v4, v4, v8
	v_lshlrev_b32_e32 v8, 29, v1
	v_cmp_gt_i64_e32 vcc, 0, v[7:8]
	v_not_b32_e32 v8, v8
	v_and_b32_e32 v2, exec_hi, v2
	v_ashrrev_i32_e32 v8, 31, v8
	v_and_b32_e32 v2, v2, v11
	v_xor_b32_e32 v11, vcc_hi, v8
	v_xor_b32_e32 v8, vcc_lo, v8
	v_and_b32_e32 v4, v4, v8
	v_lshlrev_b32_e32 v8, 28, v1
	v_cmp_gt_i64_e32 vcc, 0, v[7:8]
	v_not_b32_e32 v8, v8
	v_ashrrev_i32_e32 v8, 31, v8
	v_and_b32_e32 v2, v2, v11
	v_xor_b32_e32 v11, vcc_hi, v8
	v_xor_b32_e32 v8, vcc_lo, v8
	v_and_b32_e32 v4, v4, v8
	v_lshlrev_b32_e32 v8, 27, v1
	v_cmp_gt_i64_e32 vcc, 0, v[7:8]
	v_not_b32_e32 v8, v8
	;; [unrolled: 8-line block ×4, first 2 shown]
	v_ashrrev_i32_e32 v8, 31, v8
	v_and_b32_e32 v2, v2, v11
	v_xor_b32_e32 v11, vcc_hi, v8
	v_xor_b32_e32 v8, vcc_lo, v8
	v_and_b32_e32 v4, v4, v8
	v_lshlrev_b32_e32 v8, 24, v1
	v_lshlrev_b32_sdwa v3, v25, v1 dst_sel:DWORD dst_unused:UNUSED_PAD src0_sel:DWORD src1_sel:BYTE_0
	v_cmp_gt_i64_e32 vcc, 0, v[7:8]
	v_not_b32_e32 v1, v8
	v_ashrrev_i32_e32 v1, 31, v1
	v_xor_b32_e32 v8, vcc_hi, v1
	v_xor_b32_e32 v1, vcc_lo, v1
	v_and_b32_e32 v2, v2, v11
	v_and_b32_e32 v1, v4, v1
	;; [unrolled: 1-line block ×3, first 2 shown]
	v_mbcnt_lo_u32_b32 v4, v1, 0
	v_mbcnt_hi_u32_b32 v11, v2, v4
	v_cmp_ne_u64_e32 vcc, 0, v[1:2]
	v_cmp_eq_u32_e64 s[36:37], 0, v11
	v_mov_b32_e32 v23, v14
	v_mov_b32_e32 v24, v13
	;; [unrolled: 1-line block ×3, first 2 shown]
	s_and_b64 s[40:41], vcc, s[36:37]
	v_add_u32_e32 v12, v22, v3
	ds_write2_b64 v17, v[5:6], v[9:10] offset0:4 offset1:5
	s_waitcnt lgkmcnt(0)
	s_barrier
	; wave barrier
	s_and_saveexec_b64 s[36:37], s[40:41]
; %bb.5:                                ;   in Loop: Header=BB15_4 Depth=1
	v_bcnt_u32_b32 v1, v1, 0
	v_bcnt_u32_b32 v1, v2, v1
	ds_write_b32 v12, v1 offset:32
; %bb.6:                                ;   in Loop: Header=BB15_4 Depth=1
	s_or_b64 exec, exec, s[36:37]
	v_lshrrev_b32_e32 v1, v26, v27
	v_lshlrev_b32_sdwa v2, v25, v1 dst_sel:DWORD dst_unused:UNUSED_PAD src0_sel:DWORD src1_sel:BYTE_0
	v_add_u32_e32 v14, v22, v2
	v_and_b32_e32 v2, 1, v1
	v_add_co_u32_e32 v3, vcc, -1, v2
	v_addc_co_u32_e64 v4, s[36:37], 0, -1, vcc
	v_cmp_ne_u32_e32 vcc, 0, v2
	v_lshlrev_b32_e32 v8, 30, v1
	v_xor_b32_e32 v2, vcc_hi, v4
	v_xor_b32_e32 v3, vcc_lo, v3
	v_cmp_gt_i64_e32 vcc, 0, v[7:8]
	v_not_b32_e32 v4, v8
	v_ashrrev_i32_e32 v4, 31, v4
	v_and_b32_e32 v2, exec_hi, v2
	v_xor_b32_e32 v8, vcc_hi, v4
	v_and_b32_e32 v3, exec_lo, v3
	v_xor_b32_e32 v4, vcc_lo, v4
	v_and_b32_e32 v2, v2, v8
	v_lshlrev_b32_e32 v8, 29, v1
	v_and_b32_e32 v3, v3, v4
	v_cmp_gt_i64_e32 vcc, 0, v[7:8]
	v_not_b32_e32 v4, v8
	v_ashrrev_i32_e32 v4, 31, v4
	v_xor_b32_e32 v8, vcc_hi, v4
	v_xor_b32_e32 v4, vcc_lo, v4
	v_and_b32_e32 v2, v2, v8
	v_lshlrev_b32_e32 v8, 28, v1
	v_and_b32_e32 v3, v3, v4
	v_cmp_gt_i64_e32 vcc, 0, v[7:8]
	v_not_b32_e32 v4, v8
	v_ashrrev_i32_e32 v4, 31, v4
	v_xor_b32_e32 v8, vcc_hi, v4
	;; [unrolled: 8-line block ×5, first 2 shown]
	v_and_b32_e32 v2, v2, v8
	v_lshlrev_b32_e32 v8, 24, v1
	v_xor_b32_e32 v4, vcc_lo, v4
	v_cmp_gt_i64_e32 vcc, 0, v[7:8]
	v_not_b32_e32 v1, v8
	v_ashrrev_i32_e32 v1, 31, v1
	v_and_b32_e32 v3, v3, v4
	v_xor_b32_e32 v4, vcc_hi, v1
	v_xor_b32_e32 v1, vcc_lo, v1
	; wave barrier
	ds_read_b32 v13, v14 offset:32
	v_and_b32_e32 v1, v3, v1
	v_and_b32_e32 v2, v2, v4
	v_mbcnt_lo_u32_b32 v3, v1, 0
	v_mbcnt_hi_u32_b32 v29, v2, v3
	v_cmp_ne_u64_e32 vcc, 0, v[1:2]
	v_cmp_eq_u32_e64 s[36:37], 0, v29
	s_and_b64 s[40:41], vcc, s[36:37]
	; wave barrier
	s_and_saveexec_b64 s[36:37], s[40:41]
	s_cbranch_execz .LBB15_8
; %bb.7:                                ;   in Loop: Header=BB15_4 Depth=1
	v_bcnt_u32_b32 v1, v1, 0
	v_bcnt_u32_b32 v1, v2, v1
	s_waitcnt lgkmcnt(0)
	v_add_u32_e32 v1, v13, v1
	ds_write_b32 v14, v1 offset:32
.LBB15_8:                               ;   in Loop: Header=BB15_4 Depth=1
	s_or_b64 exec, exec, s[36:37]
	v_lshrrev_b32_e32 v1, v26, v24
	v_lshlrev_b32_sdwa v2, v25, v1 dst_sel:DWORD dst_unused:UNUSED_PAD src0_sel:DWORD src1_sel:BYTE_0
	v_add_u32_e32 v31, v22, v2
	v_and_b32_e32 v2, 1, v1
	v_add_co_u32_e32 v3, vcc, -1, v2
	v_addc_co_u32_e64 v4, s[36:37], 0, -1, vcc
	v_cmp_ne_u32_e32 vcc, 0, v2
	v_lshlrev_b32_e32 v8, 30, v1
	v_xor_b32_e32 v2, vcc_hi, v4
	v_xor_b32_e32 v3, vcc_lo, v3
	v_cmp_gt_i64_e32 vcc, 0, v[7:8]
	v_not_b32_e32 v4, v8
	v_ashrrev_i32_e32 v4, 31, v4
	v_and_b32_e32 v2, exec_hi, v2
	v_xor_b32_e32 v8, vcc_hi, v4
	v_and_b32_e32 v3, exec_lo, v3
	v_xor_b32_e32 v4, vcc_lo, v4
	v_and_b32_e32 v2, v2, v8
	v_lshlrev_b32_e32 v8, 29, v1
	v_and_b32_e32 v3, v3, v4
	v_cmp_gt_i64_e32 vcc, 0, v[7:8]
	v_not_b32_e32 v4, v8
	v_ashrrev_i32_e32 v4, 31, v4
	v_xor_b32_e32 v8, vcc_hi, v4
	v_xor_b32_e32 v4, vcc_lo, v4
	v_and_b32_e32 v2, v2, v8
	v_lshlrev_b32_e32 v8, 28, v1
	v_and_b32_e32 v3, v3, v4
	v_cmp_gt_i64_e32 vcc, 0, v[7:8]
	v_not_b32_e32 v4, v8
	v_ashrrev_i32_e32 v4, 31, v4
	v_xor_b32_e32 v8, vcc_hi, v4
	v_xor_b32_e32 v4, vcc_lo, v4
	v_and_b32_e32 v2, v2, v8
	v_lshlrev_b32_e32 v8, 27, v1
	v_and_b32_e32 v3, v3, v4
	v_cmp_gt_i64_e32 vcc, 0, v[7:8]
	v_not_b32_e32 v4, v8
	v_ashrrev_i32_e32 v4, 31, v4
	v_xor_b32_e32 v8, vcc_hi, v4
	v_xor_b32_e32 v4, vcc_lo, v4
	v_and_b32_e32 v2, v2, v8
	v_lshlrev_b32_e32 v8, 26, v1
	v_and_b32_e32 v3, v3, v4
	v_cmp_gt_i64_e32 vcc, 0, v[7:8]
	v_not_b32_e32 v4, v8
	v_ashrrev_i32_e32 v4, 31, v4
	v_xor_b32_e32 v8, vcc_hi, v4
	v_xor_b32_e32 v4, vcc_lo, v4
	v_and_b32_e32 v2, v2, v8
	v_lshlrev_b32_e32 v8, 25, v1
	v_and_b32_e32 v3, v3, v4
	v_cmp_gt_i64_e32 vcc, 0, v[7:8]
	v_not_b32_e32 v4, v8
	v_ashrrev_i32_e32 v4, 31, v4
	v_xor_b32_e32 v8, vcc_hi, v4
	v_and_b32_e32 v2, v2, v8
	v_lshlrev_b32_e32 v8, 24, v1
	v_xor_b32_e32 v4, vcc_lo, v4
	v_cmp_gt_i64_e32 vcc, 0, v[7:8]
	v_not_b32_e32 v1, v8
	v_ashrrev_i32_e32 v1, 31, v1
	v_and_b32_e32 v3, v3, v4
	v_xor_b32_e32 v4, vcc_hi, v1
	v_xor_b32_e32 v1, vcc_lo, v1
	; wave barrier
	ds_read_b32 v30, v31 offset:32
	v_and_b32_e32 v1, v3, v1
	v_and_b32_e32 v2, v2, v4
	v_mbcnt_lo_u32_b32 v3, v1, 0
	v_mbcnt_hi_u32_b32 v32, v2, v3
	v_cmp_ne_u64_e32 vcc, 0, v[1:2]
	v_cmp_eq_u32_e64 s[36:37], 0, v32
	s_and_b64 s[40:41], vcc, s[36:37]
	; wave barrier
	s_and_saveexec_b64 s[36:37], s[40:41]
	s_cbranch_execz .LBB15_10
; %bb.9:                                ;   in Loop: Header=BB15_4 Depth=1
	v_bcnt_u32_b32 v1, v1, 0
	v_bcnt_u32_b32 v1, v2, v1
	s_waitcnt lgkmcnt(0)
	v_add_u32_e32 v1, v30, v1
	ds_write_b32 v31, v1 offset:32
.LBB15_10:                              ;   in Loop: Header=BB15_4 Depth=1
	s_or_b64 exec, exec, s[36:37]
	v_lshrrev_b32_e32 v1, v26, v23
	v_lshlrev_b32_sdwa v2, v25, v1 dst_sel:DWORD dst_unused:UNUSED_PAD src0_sel:DWORD src1_sel:BYTE_0
	v_add_u32_e32 v34, v22, v2
	v_and_b32_e32 v2, 1, v1
	v_add_co_u32_e32 v3, vcc, -1, v2
	v_addc_co_u32_e64 v4, s[36:37], 0, -1, vcc
	v_cmp_ne_u32_e32 vcc, 0, v2
	v_lshlrev_b32_e32 v8, 30, v1
	v_xor_b32_e32 v2, vcc_hi, v4
	v_xor_b32_e32 v3, vcc_lo, v3
	v_cmp_gt_i64_e32 vcc, 0, v[7:8]
	v_not_b32_e32 v4, v8
	v_ashrrev_i32_e32 v4, 31, v4
	v_and_b32_e32 v2, exec_hi, v2
	v_xor_b32_e32 v8, vcc_hi, v4
	v_and_b32_e32 v3, exec_lo, v3
	v_xor_b32_e32 v4, vcc_lo, v4
	v_and_b32_e32 v2, v2, v8
	v_lshlrev_b32_e32 v8, 29, v1
	v_and_b32_e32 v3, v3, v4
	v_cmp_gt_i64_e32 vcc, 0, v[7:8]
	v_not_b32_e32 v4, v8
	v_ashrrev_i32_e32 v4, 31, v4
	v_xor_b32_e32 v8, vcc_hi, v4
	v_xor_b32_e32 v4, vcc_lo, v4
	v_and_b32_e32 v2, v2, v8
	v_lshlrev_b32_e32 v8, 28, v1
	v_and_b32_e32 v3, v3, v4
	v_cmp_gt_i64_e32 vcc, 0, v[7:8]
	v_not_b32_e32 v4, v8
	v_ashrrev_i32_e32 v4, 31, v4
	v_xor_b32_e32 v8, vcc_hi, v4
	;; [unrolled: 8-line block ×5, first 2 shown]
	v_and_b32_e32 v2, v2, v8
	v_lshlrev_b32_e32 v8, 24, v1
	v_xor_b32_e32 v4, vcc_lo, v4
	v_cmp_gt_i64_e32 vcc, 0, v[7:8]
	v_not_b32_e32 v1, v8
	v_ashrrev_i32_e32 v1, 31, v1
	v_and_b32_e32 v3, v3, v4
	v_xor_b32_e32 v4, vcc_hi, v1
	v_xor_b32_e32 v1, vcc_lo, v1
	; wave barrier
	ds_read_b32 v33, v34 offset:32
	v_and_b32_e32 v1, v3, v1
	v_and_b32_e32 v2, v2, v4
	v_mbcnt_lo_u32_b32 v3, v1, 0
	v_mbcnt_hi_u32_b32 v8, v2, v3
	v_cmp_ne_u64_e32 vcc, 0, v[1:2]
	v_cmp_eq_u32_e64 s[36:37], 0, v8
	s_and_b64 s[40:41], vcc, s[36:37]
	; wave barrier
	s_and_saveexec_b64 s[36:37], s[40:41]
	s_cbranch_execz .LBB15_12
; %bb.11:                               ;   in Loop: Header=BB15_4 Depth=1
	v_bcnt_u32_b32 v1, v1, 0
	v_bcnt_u32_b32 v1, v2, v1
	s_waitcnt lgkmcnt(0)
	v_add_u32_e32 v1, v33, v1
	ds_write_b32 v34, v1 offset:32
.LBB15_12:                              ;   in Loop: Header=BB15_4 Depth=1
	s_or_b64 exec, exec, s[36:37]
	; wave barrier
	s_waitcnt lgkmcnt(0)
	s_barrier
	ds_read2_b64 v[1:4], v17 offset0:4 offset1:5
	s_waitcnt lgkmcnt(0)
	v_add_u32_e32 v35, v2, v1
	v_add3_u32 v4, v35, v3, v4
	s_nop 1
	v_mov_b32_dpp v35, v4 row_shr:1 row_mask:0xf bank_mask:0xf
	v_cndmask_b32_e64 v35, v35, 0, s[34:35]
	v_add_u32_e32 v4, v35, v4
	s_nop 1
	v_mov_b32_dpp v35, v4 row_shr:2 row_mask:0xf bank_mask:0xf
	v_cndmask_b32_e64 v35, 0, v35, s[8:9]
	v_add_u32_e32 v4, v4, v35
	;; [unrolled: 4-line block ×4, first 2 shown]
	s_nop 1
	v_mov_b32_dpp v35, v4 row_bcast:15 row_mask:0xf bank_mask:0xf
	v_cndmask_b32_e64 v35, v35, 0, s[14:15]
	v_add_u32_e32 v4, v4, v35
	s_nop 1
	v_mov_b32_dpp v35, v4 row_bcast:31 row_mask:0xf bank_mask:0xf
	v_cndmask_b32_e64 v35, 0, v35, s[16:17]
	v_add_u32_e32 v4, v4, v35
	s_and_saveexec_b64 s[36:37], s[18:19]
; %bb.13:                               ;   in Loop: Header=BB15_4 Depth=1
	ds_write_b32 v19, v4
; %bb.14:                               ;   in Loop: Header=BB15_4 Depth=1
	s_or_b64 exec, exec, s[36:37]
	s_waitcnt lgkmcnt(0)
	s_barrier
	s_and_saveexec_b64 s[36:37], s[20:21]
	s_cbranch_execz .LBB15_16
; %bb.15:                               ;   in Loop: Header=BB15_4 Depth=1
	ds_read_b32 v35, v16
	s_waitcnt lgkmcnt(0)
	s_nop 0
	v_mov_b32_dpp v36, v35 row_shr:1 row_mask:0xf bank_mask:0xf
	v_cndmask_b32_e64 v36, v36, 0, s[26:27]
	v_add_u32_e32 v35, v36, v35
	s_nop 1
	v_mov_b32_dpp v36, v35 row_shr:2 row_mask:0xf bank_mask:0xf
	v_cndmask_b32_e64 v36, 0, v36, s[28:29]
	v_add_u32_e32 v35, v35, v36
	;; [unrolled: 4-line block ×3, first 2 shown]
	ds_write_b32 v16, v35
.LBB15_16:                              ;   in Loop: Header=BB15_4 Depth=1
	s_or_b64 exec, exec, s[36:37]
	v_mov_b32_e32 v35, 0
	s_waitcnt lgkmcnt(0)
	s_barrier
	s_and_saveexec_b64 s[36:37], s[22:23]
; %bb.17:                               ;   in Loop: Header=BB15_4 Depth=1
	ds_read_b32 v35, v20
; %bb.18:                               ;   in Loop: Header=BB15_4 Depth=1
	s_or_b64 exec, exec, s[36:37]
	s_waitcnt lgkmcnt(0)
	v_add_u32_e32 v4, v35, v4
	ds_bpermute_b32 v4, v18, v4
	v_cmp_lt_u32_e32 vcc, 23, v26
	s_and_b64 vcc, exec, vcc
	s_mov_b64 s[36:37], -1
	s_waitcnt lgkmcnt(0)
	v_cndmask_b32_e64 v4, v4, v35, s[24:25]
	v_cndmask_b32_e64 v35, v4, 0, s[2:3]
	v_add_u32_e32 v36, v35, v1
	v_add_u32_e32 v1, v36, v2
	;; [unrolled: 1-line block ×3, first 2 shown]
	ds_write2_b64 v17, v[35:36], v[1:2] offset0:4 offset1:5
	s_waitcnt lgkmcnt(0)
	s_barrier
	ds_read_b32 v1, v12 offset:32
	ds_read_b32 v2, v14 offset:32
	;; [unrolled: 1-line block ×4, first 2 shown]
	s_waitcnt lgkmcnt(3)
	v_add_u32_e32 v4, v1, v11
	s_waitcnt lgkmcnt(2)
	v_add3_u32 v3, v29, v13, v2
	s_waitcnt lgkmcnt(1)
	v_add3_u32 v2, v32, v30, v12
	;; [unrolled: 2-line block ×3, first 2 shown]
                                        ; implicit-def: $vgpr14
                                        ; implicit-def: $vgpr12
	s_cbranch_vccnz .LBB15_3
; %bb.19:                               ;   in Loop: Header=BB15_4 Depth=1
	v_lshlrev_b32_e32 v8, 2, v4
	s_barrier
	ds_write_b32 v8, v28
	v_lshlrev_b32_e32 v8, 2, v3
	ds_write_b32 v8, v27
	v_lshlrev_b32_e32 v8, 2, v2
	;; [unrolled: 2-line block ×3, first 2 shown]
	ds_write_b32 v8, v23
	s_waitcnt lgkmcnt(0)
	s_barrier
	ds_read2st64_b32 v[11:12], v21 offset1:1
	ds_read2st64_b32 v[13:14], v21 offset0:2 offset1:3
	v_add_u32_e32 v26, 8, v26
	s_mov_b64 s[36:37], 0
	s_waitcnt lgkmcnt(0)
	s_barrier
	s_branch .LBB15_3
.LBB15_20:
	v_lshlrev_b32_e32 v4, 2, v4
	v_lshlrev_b32_e32 v3, 2, v3
	;; [unrolled: 1-line block ×4, first 2 shown]
	s_barrier
	ds_write_b32 v4, v28
	ds_write_b32 v3, v27
	;; [unrolled: 1-line block ×4, first 2 shown]
	s_waitcnt lgkmcnt(0)
	s_barrier
	ds_read2_b64 v[1:4], v17 offset1:1
	s_waitcnt lgkmcnt(0)
	s_barrier
	s_and_saveexec_b64 s[8:9], s[0:1]
; %bb.21:
	v_mov_b32_e32 v5, 0x800
	ds_write2st64_b32 v16, v5, v5 offset0:16 offset1:24
; %bb.22:
	s_or_b64 exec, exec, s[8:9]
	v_cmp_ne_u32_e32 vcc, v3, v4
	v_lshlrev_b32_e32 v5, 2, v3
	s_waitcnt lgkmcnt(0)
	s_barrier
	ds_write_b32 v16, v4
	s_and_saveexec_b64 s[8:9], vcc
	s_cbranch_execz .LBB15_24
; %bb.23:
	v_lshlrev_b32_e32 v4, 2, v4
	v_or_b32_e32 v6, 3, v15
	ds_write_b32 v4, v6 offset:4096
	ds_write_b32 v5, v6 offset:6144
.LBB15_24:
	s_or_b64 exec, exec, s[8:9]
	v_cmp_ne_u32_e32 vcc, v2, v3
	v_lshlrev_b32_e32 v3, 2, v2
	s_and_saveexec_b64 s[8:9], vcc
	s_cbranch_execz .LBB15_26
; %bb.25:
	v_or_b32_e32 v4, 2, v15
	ds_write_b32 v5, v4 offset:4096
	ds_write_b32 v3, v4 offset:6144
.LBB15_26:
	s_or_b64 exec, exec, s[8:9]
	v_cmp_ne_u32_e32 vcc, v1, v2
	v_lshlrev_b32_e32 v2, 2, v1
	s_and_saveexec_b64 s[8:9], vcc
	s_cbranch_execz .LBB15_28
; %bb.27:
	v_or_b32_e32 v4, 1, v15
	ds_write_b32 v3, v4 offset:4096
	ds_write_b32 v2, v4 offset:6144
.LBB15_28:
	s_or_b64 exec, exec, s[8:9]
	s_waitcnt lgkmcnt(0)
	s_barrier
	s_and_saveexec_b64 s[8:9], s[4:5]
	s_cbranch_execz .LBB15_31
; %bb.29:
	v_add_u32_e32 v3, -4, v16
	ds_read_b32 v3, v3
	s_waitcnt lgkmcnt(0)
	v_cmp_ne_u32_e32 vcc, v3, v1
	s_and_b64 exec, exec, vcc
	s_cbranch_execz .LBB15_31
; %bb.30:
	v_lshlrev_b32_e32 v1, 2, v3
	ds_write_b32 v2, v15 offset:4096
	ds_write_b32 v1, v15 offset:6144
.LBB15_31:
	s_or_b64 exec, exec, s[8:9]
	s_waitcnt lgkmcnt(0)
	s_barrier
	s_and_saveexec_b64 s[4:5], s[2:3]
; %bb.32:
	v_mov_b32_e32 v1, 0
	ds_write_b32 v2, v1 offset:4096
; %bb.33:
	s_or_b64 exec, exec, s[4:5]
	s_waitcnt lgkmcnt(0)
	s_barrier
	s_and_saveexec_b64 s[2:3], s[0:1]
	s_cbranch_execz .LBB15_35
; %bb.34:
	ds_read2st64_b32 v[1:2], v16 offset0:16 offset1:24
	ds_read_b32 v3, v15 offset:8224
	s_waitcnt lgkmcnt(1)
	v_sub_u32_e32 v1, v2, v1
	s_waitcnt lgkmcnt(0)
	v_add_u32_e32 v1, v1, v3
	ds_write_b32 v15, v1 offset:8224
.LBB15_35:
	s_or_b64 exec, exec, s[2:3]
	s_waitcnt lgkmcnt(0)
	s_barrier
	s_and_saveexec_b64 s[2:3], s[0:1]
	s_cbranch_execz .LBB15_37
; %bb.36:
	v_lshl_or_b32 v0, s6, 9, v0
	v_mov_b32_e32 v1, 0
	ds_read_b32 v3, v15 offset:8224
	v_lshlrev_b64 v[0:1], 2, v[0:1]
	v_mov_b32_e32 v2, s39
	v_add_co_u32_e32 v0, vcc, s38, v0
	v_addc_co_u32_e32 v1, vcc, v2, v1, vcc
	s_waitcnt lgkmcnt(0)
	global_store_dword v[0:1], v3, off
.LBB15_37:
	s_endpgm
	.section	.rodata,"a",@progbits
	.p2align	6, 0x0
	.amdhsa_kernel _Z16histogram_kernelILj512ELj4ELj512ELN6hipcub23BlockHistogramAlgorithmE1EjEvPT3_S3_
		.amdhsa_group_segment_fixed_size 10272
		.amdhsa_private_segment_fixed_size 0
		.amdhsa_kernarg_size 272
		.amdhsa_user_sgpr_count 6
		.amdhsa_user_sgpr_private_segment_buffer 1
		.amdhsa_user_sgpr_dispatch_ptr 0
		.amdhsa_user_sgpr_queue_ptr 0
		.amdhsa_user_sgpr_kernarg_segment_ptr 1
		.amdhsa_user_sgpr_dispatch_id 0
		.amdhsa_user_sgpr_flat_scratch_init 0
		.amdhsa_user_sgpr_private_segment_size 0
		.amdhsa_uses_dynamic_stack 0
		.amdhsa_system_sgpr_private_segment_wavefront_offset 0
		.amdhsa_system_sgpr_workgroup_id_x 1
		.amdhsa_system_sgpr_workgroup_id_y 0
		.amdhsa_system_sgpr_workgroup_id_z 0
		.amdhsa_system_sgpr_workgroup_info 0
		.amdhsa_system_vgpr_workitem_id 2
		.amdhsa_next_free_vgpr 37
		.amdhsa_next_free_sgpr 42
		.amdhsa_reserve_vcc 1
		.amdhsa_reserve_flat_scratch 0
		.amdhsa_float_round_mode_32 0
		.amdhsa_float_round_mode_16_64 0
		.amdhsa_float_denorm_mode_32 3
		.amdhsa_float_denorm_mode_16_64 3
		.amdhsa_dx10_clamp 1
		.amdhsa_ieee_mode 1
		.amdhsa_fp16_overflow 0
		.amdhsa_exception_fp_ieee_invalid_op 0
		.amdhsa_exception_fp_denorm_src 0
		.amdhsa_exception_fp_ieee_div_zero 0
		.amdhsa_exception_fp_ieee_overflow 0
		.amdhsa_exception_fp_ieee_underflow 0
		.amdhsa_exception_fp_ieee_inexact 0
		.amdhsa_exception_int_div_zero 0
	.end_amdhsa_kernel
	.section	.text._Z16histogram_kernelILj512ELj4ELj512ELN6hipcub23BlockHistogramAlgorithmE1EjEvPT3_S3_,"axG",@progbits,_Z16histogram_kernelILj512ELj4ELj512ELN6hipcub23BlockHistogramAlgorithmE1EjEvPT3_S3_,comdat
.Lfunc_end15:
	.size	_Z16histogram_kernelILj512ELj4ELj512ELN6hipcub23BlockHistogramAlgorithmE1EjEvPT3_S3_, .Lfunc_end15-_Z16histogram_kernelILj512ELj4ELj512ELN6hipcub23BlockHistogramAlgorithmE1EjEvPT3_S3_
                                        ; -- End function
	.set _Z16histogram_kernelILj512ELj4ELj512ELN6hipcub23BlockHistogramAlgorithmE1EjEvPT3_S3_.num_vgpr, 37
	.set _Z16histogram_kernelILj512ELj4ELj512ELN6hipcub23BlockHistogramAlgorithmE1EjEvPT3_S3_.num_agpr, 0
	.set _Z16histogram_kernelILj512ELj4ELj512ELN6hipcub23BlockHistogramAlgorithmE1EjEvPT3_S3_.numbered_sgpr, 42
	.set _Z16histogram_kernelILj512ELj4ELj512ELN6hipcub23BlockHistogramAlgorithmE1EjEvPT3_S3_.num_named_barrier, 0
	.set _Z16histogram_kernelILj512ELj4ELj512ELN6hipcub23BlockHistogramAlgorithmE1EjEvPT3_S3_.private_seg_size, 0
	.set _Z16histogram_kernelILj512ELj4ELj512ELN6hipcub23BlockHistogramAlgorithmE1EjEvPT3_S3_.uses_vcc, 1
	.set _Z16histogram_kernelILj512ELj4ELj512ELN6hipcub23BlockHistogramAlgorithmE1EjEvPT3_S3_.uses_flat_scratch, 0
	.set _Z16histogram_kernelILj512ELj4ELj512ELN6hipcub23BlockHistogramAlgorithmE1EjEvPT3_S3_.has_dyn_sized_stack, 0
	.set _Z16histogram_kernelILj512ELj4ELj512ELN6hipcub23BlockHistogramAlgorithmE1EjEvPT3_S3_.has_recursion, 0
	.set _Z16histogram_kernelILj512ELj4ELj512ELN6hipcub23BlockHistogramAlgorithmE1EjEvPT3_S3_.has_indirect_call, 0
	.section	.AMDGPU.csdata,"",@progbits
; Kernel info:
; codeLenInByte = 3248
; TotalNumSgprs: 46
; NumVgprs: 37
; ScratchSize: 0
; MemoryBound: 0
; FloatMode: 240
; IeeeMode: 1
; LDSByteSize: 10272 bytes/workgroup (compile time only)
; SGPRBlocks: 5
; VGPRBlocks: 9
; NumSGPRsForWavesPerEU: 46
; NumVGPRsForWavesPerEU: 37
; Occupancy: 6
; WaveLimiterHint : 0
; COMPUTE_PGM_RSRC2:SCRATCH_EN: 0
; COMPUTE_PGM_RSRC2:USER_SGPR: 6
; COMPUTE_PGM_RSRC2:TRAP_HANDLER: 0
; COMPUTE_PGM_RSRC2:TGID_X_EN: 1
; COMPUTE_PGM_RSRC2:TGID_Y_EN: 0
; COMPUTE_PGM_RSRC2:TGID_Z_EN: 0
; COMPUTE_PGM_RSRC2:TIDIG_COMP_CNT: 2
	.section	.text._Z16histogram_kernelILj256ELj3ELj512ELN6hipcub23BlockHistogramAlgorithmE1EjEvPT3_S3_,"axG",@progbits,_Z16histogram_kernelILj256ELj3ELj512ELN6hipcub23BlockHistogramAlgorithmE1EjEvPT3_S3_,comdat
	.protected	_Z16histogram_kernelILj256ELj3ELj512ELN6hipcub23BlockHistogramAlgorithmE1EjEvPT3_S3_ ; -- Begin function _Z16histogram_kernelILj256ELj3ELj512ELN6hipcub23BlockHistogramAlgorithmE1EjEvPT3_S3_
	.globl	_Z16histogram_kernelILj256ELj3ELj512ELN6hipcub23BlockHistogramAlgorithmE1EjEvPT3_S3_
	.p2align	8
	.type	_Z16histogram_kernelILj256ELj3ELj512ELN6hipcub23BlockHistogramAlgorithmE1EjEvPT3_S3_,@function
_Z16histogram_kernelILj256ELj3ELj512ELN6hipcub23BlockHistogramAlgorithmE1EjEvPT3_S3_: ; @_Z16histogram_kernelILj256ELj3ELj512ELN6hipcub23BlockHistogramAlgorithmE1EjEvPT3_S3_
; %bb.0:
	s_load_dwordx4 s[36:39], s[4:5], 0x0
	v_lshl_or_b32 v3, s6, 8, v0
	v_lshl_add_u32 v3, v3, 1, v3
	v_mov_b32_e32 v4, 0
	v_lshlrev_b64 v[5:6], 2, v[3:4]
	s_waitcnt lgkmcnt(0)
	v_mov_b32_e32 v8, s37
	v_add_co_u32_e32 v7, vcc, s36, v5
	v_addc_co_u32_e32 v8, vcc, v8, v6, vcc
	v_add_u32_e32 v5, 1, v3
	v_mov_b32_e32 v6, v4
	v_lshlrev_b64 v[5:6], 2, v[5:6]
	v_mov_b32_e32 v10, s37
	v_add_co_u32_e32 v9, vcc, s36, v5
	v_add_u32_e32 v3, 2, v3
	v_addc_co_u32_e32 v10, vcc, v10, v6, vcc
	v_lshlrev_b64 v[5:6], 2, v[3:4]
	v_mov_b32_e32 v3, s37
	v_add_co_u32_e32 v11, vcc, s36, v5
	v_addc_co_u32_e32 v12, vcc, v3, v6, vcc
	global_load_dword v3, v[7:8], off
	global_load_dword v5, v[9:10], off
	;; [unrolled: 1-line block ×3, first 2 shown]
	s_movk_i32 s0, 0x200
	v_cmp_gt_u32_e64 s[2:3], s0, v0
	v_lshlrev_b32_e32 v11, 2, v0
	s_and_saveexec_b64 s[0:1], s[2:3]
; %bb.1:
	ds_write_b32 v11, v4 offset:6144
; %bb.2:
	s_or_b64 exec, exec, s[0:1]
	s_movk_i32 s0, 0x100
	v_cmp_gt_u32_e64 s[0:1], s0, v0
	s_and_saveexec_b64 s[8:9], s[0:1]
; %bb.3:
	v_mov_b32_e32 v4, 0
	ds_write_b32 v11, v4 offset:7168
; %bb.4:
	s_or_b64 exec, exec, s[8:9]
	v_mbcnt_lo_u32_b32 v4, -1, 0
	v_mbcnt_hi_u32_b32 v7, -1, v4
	v_lshrrev_b32_e32 v8, 6, v0
	v_mul_u32_u24_e32 v4, 0xc0, v8
	v_mul_u32_u24_e32 v9, 3, v7
	v_add_lshl_u32 v9, v9, v4, 2
	s_waitcnt vmcnt(0) lgkmcnt(0)
	s_barrier
	ds_write2_b32 v9, v3, v5 offset1:1
	ds_write_b32 v9, v6 offset:8
	v_add_lshl_u32 v5, v7, v4, 2
	; wave barrier
	ds_read2st64_b32 v[3:4], v5 offset1:1
	ds_read_b32 v6, v5 offset:512
	s_waitcnt lgkmcnt(0)
	s_barrier
	; wave barrier
	s_barrier
	s_load_dword s4, s[4:5], 0x1c
	v_and_b32_e32 v9, 64, v7
	s_mov_b32 s36, 0
	s_mov_b32 s40, s36
	v_lshlrev_b32_e32 v13, 4, v0
	s_waitcnt lgkmcnt(0)
	s_lshr_b32 s5, s4, 16
	s_and_b32 s4, s4, 0xffff
	v_mad_u32_u24 v1, v2, s5, v1
	v_mad_u64_u32 v[1:2], s[4:5], v1, s4, v[0:1]
	v_and_b32_e32 v2, 15, v7
	v_cmp_eq_u32_e64 s[8:9], 0, v2
	v_cmp_lt_u32_e64 s[10:11], 1, v2
	v_cmp_lt_u32_e64 s[12:13], 3, v2
	;; [unrolled: 1-line block ×3, first 2 shown]
	v_and_b32_e32 v2, 16, v7
	v_cmp_eq_u32_e64 s[16:17], 0, v2
	v_and_b32_e32 v2, 0xc0, v0
	v_or_b32_e32 v5, 63, v2
	v_cmp_eq_u32_e64 s[20:21], v0, v5
	v_subrev_co_u32_e64 v5, s[26:27], 1, v7
	v_cmp_lt_i32_e32 vcc, v5, v9
	v_cndmask_b32_e32 v5, v5, v7, vcc
	v_mul_u32_u24_e32 v2, 3, v2
	v_cmp_lt_u32_e64 s[18:19], 31, v7
	v_lshlrev_b32_e32 v14, 2, v5
	v_lshlrev_b32_e32 v15, 2, v8
	v_and_b32_e32 v5, 3, v7
	v_add_lshl_u32 v17, v7, v2, 2
	v_lshrrev_b32_e32 v1, 4, v1
	s_mov_b32 s37, s36
	s_mov_b32 s41, s36
	v_mov_b32_e32 v7, s36
	v_mov_b32_e32 v9, s40
	v_cmp_gt_u32_e64 s[22:23], 4, v0
	v_cmp_lt_u32_e64 s[24:25], 63, v0
	v_cmp_eq_u32_e64 s[4:5], 0, v0
	v_cmp_ne_u32_e64 s[34:35], 0, v0
	v_mad_i32_i24 v12, v0, -12, v13
	v_cmp_eq_u32_e64 s[28:29], 0, v5
	v_cmp_lt_u32_e64 s[30:31], 1, v5
	v_add_u32_e32 v16, -4, v15
	v_and_b32_e32 v18, 0xffffffc, v1
	v_mov_b32_e32 v5, 0
	v_mov_b32_e32 v8, s37
	;; [unrolled: 1-line block ×5, first 2 shown]
	s_branch .LBB16_6
.LBB16_5:                               ;   in Loop: Header=BB16_6 Depth=1
	s_andn2_b64 vcc, exec, s[36:37]
	s_cbranch_vccz .LBB16_20
.LBB16_6:                               ; =>This Inner Loop Header: Depth=1
	v_mov_b32_e32 v23, v3
	v_lshrrev_b32_e32 v1, v22, v23
	v_and_b32_e32 v2, 1, v1
	v_mov_b32_e32 v20, v4
	v_add_co_u32_e32 v4, vcc, -1, v2
	v_mov_b32_e32 v19, v6
	v_addc_co_u32_e64 v6, s[36:37], 0, -1, vcc
	v_cmp_ne_u32_e32 vcc, 0, v2
	v_xor_b32_e32 v2, vcc_hi, v6
	v_lshlrev_b32_e32 v6, 30, v1
	v_xor_b32_e32 v4, vcc_lo, v4
	v_cmp_gt_i64_e32 vcc, 0, v[5:6]
	v_not_b32_e32 v6, v6
	v_ashrrev_i32_e32 v6, 31, v6
	v_and_b32_e32 v4, exec_lo, v4
	v_xor_b32_e32 v24, vcc_hi, v6
	v_xor_b32_e32 v6, vcc_lo, v6
	v_and_b32_e32 v4, v4, v6
	v_lshlrev_b32_e32 v6, 29, v1
	v_cmp_gt_i64_e32 vcc, 0, v[5:6]
	v_not_b32_e32 v6, v6
	v_and_b32_e32 v2, exec_hi, v2
	v_ashrrev_i32_e32 v6, 31, v6
	v_and_b32_e32 v2, v2, v24
	v_xor_b32_e32 v24, vcc_hi, v6
	v_xor_b32_e32 v6, vcc_lo, v6
	v_and_b32_e32 v4, v4, v6
	v_lshlrev_b32_e32 v6, 28, v1
	v_cmp_gt_i64_e32 vcc, 0, v[5:6]
	v_not_b32_e32 v6, v6
	v_ashrrev_i32_e32 v6, 31, v6
	v_and_b32_e32 v2, v2, v24
	v_xor_b32_e32 v24, vcc_hi, v6
	v_xor_b32_e32 v6, vcc_lo, v6
	v_and_b32_e32 v4, v4, v6
	v_lshlrev_b32_e32 v6, 27, v1
	v_cmp_gt_i64_e32 vcc, 0, v[5:6]
	v_not_b32_e32 v6, v6
	;; [unrolled: 8-line block ×4, first 2 shown]
	v_ashrrev_i32_e32 v6, 31, v6
	v_and_b32_e32 v2, v2, v24
	v_xor_b32_e32 v24, vcc_hi, v6
	v_xor_b32_e32 v6, vcc_lo, v6
	v_and_b32_e32 v4, v4, v6
	v_lshlrev_b32_e32 v6, 24, v1
	v_lshlrev_b32_sdwa v3, v21, v1 dst_sel:DWORD dst_unused:UNUSED_PAD src0_sel:DWORD src1_sel:BYTE_0
	v_cmp_gt_i64_e32 vcc, 0, v[5:6]
	v_not_b32_e32 v1, v6
	v_ashrrev_i32_e32 v1, 31, v1
	v_xor_b32_e32 v6, vcc_hi, v1
	v_xor_b32_e32 v1, vcc_lo, v1
	v_and_b32_e32 v2, v2, v24
	v_and_b32_e32 v1, v4, v1
	;; [unrolled: 1-line block ×3, first 2 shown]
	v_mbcnt_lo_u32_b32 v4, v1, 0
	v_mbcnt_hi_u32_b32 v24, v2, v4
	v_cmp_ne_u64_e32 vcc, 0, v[1:2]
	v_cmp_eq_u32_e64 s[36:37], 0, v24
	s_and_b64 s[40:41], vcc, s[36:37]
	v_add_u32_e32 v25, v18, v3
	ds_write2_b64 v13, v[7:8], v[9:10] offset0:2 offset1:3
	s_waitcnt lgkmcnt(0)
	s_barrier
	; wave barrier
	s_and_saveexec_b64 s[36:37], s[40:41]
; %bb.7:                                ;   in Loop: Header=BB16_6 Depth=1
	v_bcnt_u32_b32 v1, v1, 0
	v_bcnt_u32_b32 v1, v2, v1
	ds_write_b32 v25, v1 offset:16
; %bb.8:                                ;   in Loop: Header=BB16_6 Depth=1
	s_or_b64 exec, exec, s[36:37]
	v_lshrrev_b32_e32 v1, v22, v20
	v_lshlrev_b32_sdwa v2, v21, v1 dst_sel:DWORD dst_unused:UNUSED_PAD src0_sel:DWORD src1_sel:BYTE_0
	v_add_u32_e32 v27, v18, v2
	v_and_b32_e32 v2, 1, v1
	v_add_co_u32_e32 v3, vcc, -1, v2
	v_addc_co_u32_e64 v4, s[36:37], 0, -1, vcc
	v_cmp_ne_u32_e32 vcc, 0, v2
	v_lshlrev_b32_e32 v6, 30, v1
	v_xor_b32_e32 v2, vcc_hi, v4
	v_xor_b32_e32 v3, vcc_lo, v3
	v_cmp_gt_i64_e32 vcc, 0, v[5:6]
	v_not_b32_e32 v4, v6
	v_ashrrev_i32_e32 v4, 31, v4
	v_and_b32_e32 v2, exec_hi, v2
	v_xor_b32_e32 v6, vcc_hi, v4
	v_and_b32_e32 v3, exec_lo, v3
	v_xor_b32_e32 v4, vcc_lo, v4
	v_and_b32_e32 v2, v2, v6
	v_lshlrev_b32_e32 v6, 29, v1
	v_and_b32_e32 v3, v3, v4
	v_cmp_gt_i64_e32 vcc, 0, v[5:6]
	v_not_b32_e32 v4, v6
	v_ashrrev_i32_e32 v4, 31, v4
	v_xor_b32_e32 v6, vcc_hi, v4
	v_xor_b32_e32 v4, vcc_lo, v4
	v_and_b32_e32 v2, v2, v6
	v_lshlrev_b32_e32 v6, 28, v1
	v_and_b32_e32 v3, v3, v4
	v_cmp_gt_i64_e32 vcc, 0, v[5:6]
	v_not_b32_e32 v4, v6
	v_ashrrev_i32_e32 v4, 31, v4
	v_xor_b32_e32 v6, vcc_hi, v4
	;; [unrolled: 8-line block ×5, first 2 shown]
	v_and_b32_e32 v2, v2, v6
	v_lshlrev_b32_e32 v6, 24, v1
	v_xor_b32_e32 v4, vcc_lo, v4
	v_cmp_gt_i64_e32 vcc, 0, v[5:6]
	v_not_b32_e32 v1, v6
	v_ashrrev_i32_e32 v1, 31, v1
	v_and_b32_e32 v3, v3, v4
	v_xor_b32_e32 v4, vcc_hi, v1
	v_xor_b32_e32 v1, vcc_lo, v1
	; wave barrier
	ds_read_b32 v26, v27 offset:16
	v_and_b32_e32 v1, v3, v1
	v_and_b32_e32 v2, v2, v4
	v_mbcnt_lo_u32_b32 v3, v1, 0
	v_mbcnt_hi_u32_b32 v28, v2, v3
	v_cmp_ne_u64_e32 vcc, 0, v[1:2]
	v_cmp_eq_u32_e64 s[36:37], 0, v28
	s_and_b64 s[40:41], vcc, s[36:37]
	; wave barrier
	s_and_saveexec_b64 s[36:37], s[40:41]
	s_cbranch_execz .LBB16_10
; %bb.9:                                ;   in Loop: Header=BB16_6 Depth=1
	v_bcnt_u32_b32 v1, v1, 0
	v_bcnt_u32_b32 v1, v2, v1
	s_waitcnt lgkmcnt(0)
	v_add_u32_e32 v1, v26, v1
	ds_write_b32 v27, v1 offset:16
.LBB16_10:                              ;   in Loop: Header=BB16_6 Depth=1
	s_or_b64 exec, exec, s[36:37]
	v_lshrrev_b32_e32 v1, v22, v19
	v_lshlrev_b32_sdwa v2, v21, v1 dst_sel:DWORD dst_unused:UNUSED_PAD src0_sel:DWORD src1_sel:BYTE_0
	v_add_u32_e32 v30, v18, v2
	v_and_b32_e32 v2, 1, v1
	v_add_co_u32_e32 v3, vcc, -1, v2
	v_addc_co_u32_e64 v4, s[36:37], 0, -1, vcc
	v_cmp_ne_u32_e32 vcc, 0, v2
	v_lshlrev_b32_e32 v6, 30, v1
	v_xor_b32_e32 v2, vcc_hi, v4
	v_xor_b32_e32 v3, vcc_lo, v3
	v_cmp_gt_i64_e32 vcc, 0, v[5:6]
	v_not_b32_e32 v4, v6
	v_ashrrev_i32_e32 v4, 31, v4
	v_and_b32_e32 v2, exec_hi, v2
	v_xor_b32_e32 v6, vcc_hi, v4
	v_and_b32_e32 v3, exec_lo, v3
	v_xor_b32_e32 v4, vcc_lo, v4
	v_and_b32_e32 v2, v2, v6
	v_lshlrev_b32_e32 v6, 29, v1
	v_and_b32_e32 v3, v3, v4
	v_cmp_gt_i64_e32 vcc, 0, v[5:6]
	v_not_b32_e32 v4, v6
	v_ashrrev_i32_e32 v4, 31, v4
	v_xor_b32_e32 v6, vcc_hi, v4
	v_xor_b32_e32 v4, vcc_lo, v4
	v_and_b32_e32 v2, v2, v6
	v_lshlrev_b32_e32 v6, 28, v1
	v_and_b32_e32 v3, v3, v4
	v_cmp_gt_i64_e32 vcc, 0, v[5:6]
	v_not_b32_e32 v4, v6
	v_ashrrev_i32_e32 v4, 31, v4
	v_xor_b32_e32 v6, vcc_hi, v4
	;; [unrolled: 8-line block ×5, first 2 shown]
	v_and_b32_e32 v2, v2, v6
	v_lshlrev_b32_e32 v6, 24, v1
	v_xor_b32_e32 v4, vcc_lo, v4
	v_cmp_gt_i64_e32 vcc, 0, v[5:6]
	v_not_b32_e32 v1, v6
	v_ashrrev_i32_e32 v1, 31, v1
	v_and_b32_e32 v3, v3, v4
	v_xor_b32_e32 v4, vcc_hi, v1
	v_xor_b32_e32 v1, vcc_lo, v1
	; wave barrier
	ds_read_b32 v29, v30 offset:16
	v_and_b32_e32 v1, v3, v1
	v_and_b32_e32 v2, v2, v4
	v_mbcnt_lo_u32_b32 v3, v1, 0
	v_mbcnt_hi_u32_b32 v6, v2, v3
	v_cmp_ne_u64_e32 vcc, 0, v[1:2]
	v_cmp_eq_u32_e64 s[36:37], 0, v6
	s_and_b64 s[40:41], vcc, s[36:37]
	; wave barrier
	s_and_saveexec_b64 s[36:37], s[40:41]
	s_cbranch_execz .LBB16_12
; %bb.11:                               ;   in Loop: Header=BB16_6 Depth=1
	v_bcnt_u32_b32 v1, v1, 0
	v_bcnt_u32_b32 v1, v2, v1
	s_waitcnt lgkmcnt(0)
	v_add_u32_e32 v1, v29, v1
	ds_write_b32 v30, v1 offset:16
.LBB16_12:                              ;   in Loop: Header=BB16_6 Depth=1
	s_or_b64 exec, exec, s[36:37]
	; wave barrier
	s_waitcnt lgkmcnt(0)
	s_barrier
	ds_read2_b64 v[1:4], v13 offset0:2 offset1:3
	s_waitcnt lgkmcnt(0)
	v_add_u32_e32 v31, v2, v1
	v_add3_u32 v4, v31, v3, v4
	s_nop 1
	v_mov_b32_dpp v31, v4 row_shr:1 row_mask:0xf bank_mask:0xf
	v_cndmask_b32_e64 v31, v31, 0, s[8:9]
	v_add_u32_e32 v4, v31, v4
	s_nop 1
	v_mov_b32_dpp v31, v4 row_shr:2 row_mask:0xf bank_mask:0xf
	v_cndmask_b32_e64 v31, 0, v31, s[10:11]
	v_add_u32_e32 v4, v4, v31
	;; [unrolled: 4-line block ×4, first 2 shown]
	s_nop 1
	v_mov_b32_dpp v31, v4 row_bcast:15 row_mask:0xf bank_mask:0xf
	v_cndmask_b32_e64 v31, v31, 0, s[16:17]
	v_add_u32_e32 v4, v4, v31
	s_nop 1
	v_mov_b32_dpp v31, v4 row_bcast:31 row_mask:0xf bank_mask:0xf
	v_cndmask_b32_e64 v31, 0, v31, s[18:19]
	v_add_u32_e32 v4, v4, v31
	s_and_saveexec_b64 s[36:37], s[20:21]
; %bb.13:                               ;   in Loop: Header=BB16_6 Depth=1
	ds_write_b32 v15, v4
; %bb.14:                               ;   in Loop: Header=BB16_6 Depth=1
	s_or_b64 exec, exec, s[36:37]
	s_waitcnt lgkmcnt(0)
	s_barrier
	s_and_saveexec_b64 s[36:37], s[22:23]
	s_cbranch_execz .LBB16_16
; %bb.15:                               ;   in Loop: Header=BB16_6 Depth=1
	ds_read_b32 v31, v12
	s_waitcnt lgkmcnt(0)
	s_nop 0
	v_mov_b32_dpp v32, v31 row_shr:1 row_mask:0xf bank_mask:0xf
	v_cndmask_b32_e64 v32, v32, 0, s[28:29]
	v_add_u32_e32 v31, v32, v31
	s_nop 1
	v_mov_b32_dpp v32, v31 row_shr:2 row_mask:0xf bank_mask:0xf
	v_cndmask_b32_e64 v32, 0, v32, s[30:31]
	v_add_u32_e32 v31, v31, v32
	ds_write_b32 v12, v31
.LBB16_16:                              ;   in Loop: Header=BB16_6 Depth=1
	s_or_b64 exec, exec, s[36:37]
	v_mov_b32_e32 v31, 0
	s_waitcnt lgkmcnt(0)
	s_barrier
	s_and_saveexec_b64 s[36:37], s[24:25]
; %bb.17:                               ;   in Loop: Header=BB16_6 Depth=1
	ds_read_b32 v31, v16
; %bb.18:                               ;   in Loop: Header=BB16_6 Depth=1
	s_or_b64 exec, exec, s[36:37]
	s_waitcnt lgkmcnt(0)
	v_add_u32_e32 v4, v31, v4
	ds_bpermute_b32 v4, v14, v4
	v_cmp_lt_u32_e32 vcc, 23, v22
	s_and_b64 vcc, exec, vcc
	s_mov_b64 s[36:37], -1
	s_waitcnt lgkmcnt(0)
	v_cndmask_b32_e64 v4, v4, v31, s[26:27]
	v_cndmask_b32_e64 v31, v4, 0, s[4:5]
	v_add_u32_e32 v32, v31, v1
	v_add_u32_e32 v1, v32, v2
	;; [unrolled: 1-line block ×3, first 2 shown]
	ds_write2_b64 v13, v[31:32], v[1:2] offset0:2 offset1:3
	s_waitcnt lgkmcnt(0)
	s_barrier
	ds_read_b32 v1, v25 offset:16
	ds_read_b32 v2, v27 offset:16
	;; [unrolled: 1-line block ×3, first 2 shown]
	s_waitcnt lgkmcnt(2)
	v_add_u32_e32 v24, v1, v24
	s_waitcnt lgkmcnt(1)
	v_add3_u32 v2, v28, v26, v2
	s_waitcnt lgkmcnt(0)
	v_add3_u32 v1, v6, v29, v3
                                        ; implicit-def: $vgpr6
                                        ; implicit-def: $vgpr4
	s_cbranch_vccnz .LBB16_5
; %bb.19:                               ;   in Loop: Header=BB16_6 Depth=1
	v_lshlrev_b32_e32 v3, 2, v24
	s_barrier
	ds_write_b32 v3, v23
	v_lshlrev_b32_e32 v3, 2, v2
	ds_write_b32 v3, v20
	v_lshlrev_b32_e32 v3, 2, v1
	ds_write_b32 v3, v19
	s_waitcnt lgkmcnt(0)
	s_barrier
	ds_read2st64_b32 v[3:4], v17 offset1:1
	ds_read_b32 v6, v17 offset:512
	v_add_u32_e32 v22, 8, v22
	s_mov_b64 s[36:37], 0
	s_waitcnt lgkmcnt(0)
	s_barrier
	s_branch .LBB16_5
.LBB16_20:
	v_lshlrev_b32_e32 v3, 2, v24
	v_mul_u32_u24_e32 v5, 3, v0
	s_barrier
	ds_write_b32 v3, v23
	v_lshlrev_b32_e32 v2, 2, v2
	v_lshlrev_b32_e32 v1, 2, v1
	;; [unrolled: 1-line block ×3, first 2 shown]
	ds_write_b32 v2, v20
	ds_write_b32 v1, v19
	s_waitcnt lgkmcnt(0)
	s_barrier
	ds_read2_b32 v[1:2], v3 offset1:1
	ds_read_b32 v6, v3 offset:8
	v_lshlrev_b32_e32 v4, 3, v0
	s_waitcnt lgkmcnt(0)
	s_barrier
	s_and_saveexec_b64 s[8:9], s[2:3]
	s_cbranch_execz .LBB16_23
; %bb.21:
	v_sub_u32_e32 v8, v3, v4
	v_mov_b32_e32 v7, 0x300
	ds_write2st64_b32 v8, v7, v7 offset0:8 offset1:16
	s_and_b64 exec, exec, s[0:1]
; %bb.22:
	v_sub_u32_e32 v8, 0, v4
	v_add_u32_e32 v8, v3, v8
	ds_write2st64_b32 v8, v7, v7 offset0:12 offset1:20
.LBB16_23:
	s_or_b64 exec, exec, s[8:9]
	v_cmp_ne_u32_e32 vcc, v2, v6
	v_lshlrev_b32_e32 v7, 2, v2
	s_waitcnt lgkmcnt(0)
	s_barrier
	ds_write_b32 v12, v6
	s_and_saveexec_b64 s[8:9], vcc
	s_cbranch_execz .LBB16_25
; %bb.24:
	v_lshlrev_b32_e32 v6, 2, v6
	v_add_u32_e32 v8, 2, v5
	ds_write_b32 v6, v8 offset:2048
	ds_write_b32 v7, v8 offset:4096
.LBB16_25:
	s_or_b64 exec, exec, s[8:9]
	v_cmp_ne_u32_e32 vcc, v1, v2
	v_lshlrev_b32_e32 v2, 2, v1
	s_and_saveexec_b64 s[8:9], vcc
	s_cbranch_execz .LBB16_27
; %bb.26:
	v_add_u32_e32 v6, 1, v5
	ds_write_b32 v7, v6 offset:2048
	ds_write_b32 v2, v6 offset:4096
.LBB16_27:
	s_or_b64 exec, exec, s[8:9]
	s_waitcnt lgkmcnt(0)
	s_barrier
	s_and_saveexec_b64 s[8:9], s[34:35]
	s_cbranch_execz .LBB16_30
; %bb.28:
	v_add_u32_e32 v6, -4, v12
	ds_read_b32 v7, v6
	s_waitcnt lgkmcnt(0)
	v_cmp_ne_u32_e32 vcc, v7, v1
	s_and_b64 exec, exec, vcc
	s_cbranch_execz .LBB16_30
; %bb.29:
	ds_write_b32 v2, v5 offset:2048
	ds_read_b32 v1, v6
	s_waitcnt lgkmcnt(0)
	v_lshlrev_b32_e32 v1, 2, v1
	ds_write_b32 v1, v5 offset:4096
.LBB16_30:
	s_or_b64 exec, exec, s[8:9]
	s_waitcnt lgkmcnt(0)
	s_barrier
	s_and_saveexec_b64 s[8:9], s[4:5]
; %bb.31:
	v_mov_b32_e32 v1, 0
	ds_write_b32 v2, v1 offset:2048
; %bb.32:
	s_or_b64 exec, exec, s[8:9]
	s_waitcnt lgkmcnt(0)
	s_barrier
	s_and_saveexec_b64 s[4:5], s[2:3]
	s_cbranch_execz .LBB16_34
; %bb.33:
	v_sub_u32_e32 v1, v3, v4
	ds_read2st64_b32 v[1:2], v1 offset0:8 offset1:16
	ds_read_b32 v5, v11 offset:6144
	s_waitcnt lgkmcnt(1)
	v_sub_u32_e32 v1, v2, v1
	s_waitcnt lgkmcnt(0)
	v_add_u32_e32 v1, v1, v5
	ds_write_b32 v11, v1 offset:6144
.LBB16_34:
	s_or_b64 exec, exec, s[4:5]
	s_and_saveexec_b64 s[4:5], s[0:1]
	s_cbranch_execz .LBB16_36
; %bb.35:
	v_sub_u32_e32 v1, v3, v4
	ds_read2st64_b32 v[1:2], v1 offset0:12 offset1:20
	ds_read_b32 v3, v11 offset:7168
	s_waitcnt lgkmcnt(1)
	v_sub_u32_e32 v1, v2, v1
	s_waitcnt lgkmcnt(0)
	v_add_u32_e32 v1, v1, v3
	ds_write_b32 v11, v1 offset:7168
.LBB16_36:
	s_or_b64 exec, exec, s[4:5]
	s_lshl_b32 s6, s6, 9
	v_mov_b32_e32 v1, s6
	s_waitcnt lgkmcnt(0)
	s_barrier
	s_and_saveexec_b64 s[4:5], s[2:3]
	s_cbranch_execnz .LBB16_39
; %bb.37:
	s_or_b64 exec, exec, s[4:5]
	s_and_saveexec_b64 s[2:3], s[0:1]
	s_cbranch_execnz .LBB16_40
.LBB16_38:
	s_endpgm
.LBB16_39:
	v_or_b32_e32 v1, s6, v0
	v_mov_b32_e32 v2, 0
	ds_read_b32 v4, v11 offset:6144
	v_lshlrev_b64 v[1:2], 2, v[1:2]
	v_mov_b32_e32 v3, s39
	v_add_co_u32_e32 v1, vcc, s38, v1
	s_or_b32 s2, s6, 0x100
	v_addc_co_u32_e32 v2, vcc, v3, v2, vcc
	s_waitcnt lgkmcnt(0)
	global_store_dword v[1:2], v4, off
	v_mov_b32_e32 v1, s2
	s_or_b64 exec, exec, s[4:5]
	s_and_saveexec_b64 s[2:3], s[0:1]
	s_cbranch_execz .LBB16_38
.LBB16_40:
	v_add_u32_e32 v0, v1, v0
	v_mov_b32_e32 v1, 0
	ds_read_b32 v3, v11 offset:7168
	v_lshlrev_b64 v[0:1], 2, v[0:1]
	v_mov_b32_e32 v2, s39
	v_add_co_u32_e32 v0, vcc, s38, v0
	v_addc_co_u32_e32 v1, vcc, v2, v1, vcc
	s_waitcnt lgkmcnt(0)
	global_store_dword v[0:1], v3, off
	s_endpgm
	.section	.rodata,"a",@progbits
	.p2align	6, 0x0
	.amdhsa_kernel _Z16histogram_kernelILj256ELj3ELj512ELN6hipcub23BlockHistogramAlgorithmE1EjEvPT3_S3_
		.amdhsa_group_segment_fixed_size 8192
		.amdhsa_private_segment_fixed_size 0
		.amdhsa_kernarg_size 272
		.amdhsa_user_sgpr_count 6
		.amdhsa_user_sgpr_private_segment_buffer 1
		.amdhsa_user_sgpr_dispatch_ptr 0
		.amdhsa_user_sgpr_queue_ptr 0
		.amdhsa_user_sgpr_kernarg_segment_ptr 1
		.amdhsa_user_sgpr_dispatch_id 0
		.amdhsa_user_sgpr_flat_scratch_init 0
		.amdhsa_user_sgpr_private_segment_size 0
		.amdhsa_uses_dynamic_stack 0
		.amdhsa_system_sgpr_private_segment_wavefront_offset 0
		.amdhsa_system_sgpr_workgroup_id_x 1
		.amdhsa_system_sgpr_workgroup_id_y 0
		.amdhsa_system_sgpr_workgroup_id_z 0
		.amdhsa_system_sgpr_workgroup_info 0
		.amdhsa_system_vgpr_workitem_id 2
		.amdhsa_next_free_vgpr 33
		.amdhsa_next_free_sgpr 61
		.amdhsa_reserve_vcc 1
		.amdhsa_reserve_flat_scratch 0
		.amdhsa_float_round_mode_32 0
		.amdhsa_float_round_mode_16_64 0
		.amdhsa_float_denorm_mode_32 3
		.amdhsa_float_denorm_mode_16_64 3
		.amdhsa_dx10_clamp 1
		.amdhsa_ieee_mode 1
		.amdhsa_fp16_overflow 0
		.amdhsa_exception_fp_ieee_invalid_op 0
		.amdhsa_exception_fp_denorm_src 0
		.amdhsa_exception_fp_ieee_div_zero 0
		.amdhsa_exception_fp_ieee_overflow 0
		.amdhsa_exception_fp_ieee_underflow 0
		.amdhsa_exception_fp_ieee_inexact 0
		.amdhsa_exception_int_div_zero 0
	.end_amdhsa_kernel
	.section	.text._Z16histogram_kernelILj256ELj3ELj512ELN6hipcub23BlockHistogramAlgorithmE1EjEvPT3_S3_,"axG",@progbits,_Z16histogram_kernelILj256ELj3ELj512ELN6hipcub23BlockHistogramAlgorithmE1EjEvPT3_S3_,comdat
.Lfunc_end16:
	.size	_Z16histogram_kernelILj256ELj3ELj512ELN6hipcub23BlockHistogramAlgorithmE1EjEvPT3_S3_, .Lfunc_end16-_Z16histogram_kernelILj256ELj3ELj512ELN6hipcub23BlockHistogramAlgorithmE1EjEvPT3_S3_
                                        ; -- End function
	.set _Z16histogram_kernelILj256ELj3ELj512ELN6hipcub23BlockHistogramAlgorithmE1EjEvPT3_S3_.num_vgpr, 33
	.set _Z16histogram_kernelILj256ELj3ELj512ELN6hipcub23BlockHistogramAlgorithmE1EjEvPT3_S3_.num_agpr, 0
	.set _Z16histogram_kernelILj256ELj3ELj512ELN6hipcub23BlockHistogramAlgorithmE1EjEvPT3_S3_.numbered_sgpr, 42
	.set _Z16histogram_kernelILj256ELj3ELj512ELN6hipcub23BlockHistogramAlgorithmE1EjEvPT3_S3_.num_named_barrier, 0
	.set _Z16histogram_kernelILj256ELj3ELj512ELN6hipcub23BlockHistogramAlgorithmE1EjEvPT3_S3_.private_seg_size, 0
	.set _Z16histogram_kernelILj256ELj3ELj512ELN6hipcub23BlockHistogramAlgorithmE1EjEvPT3_S3_.uses_vcc, 1
	.set _Z16histogram_kernelILj256ELj3ELj512ELN6hipcub23BlockHistogramAlgorithmE1EjEvPT3_S3_.uses_flat_scratch, 0
	.set _Z16histogram_kernelILj256ELj3ELj512ELN6hipcub23BlockHistogramAlgorithmE1EjEvPT3_S3_.has_dyn_sized_stack, 0
	.set _Z16histogram_kernelILj256ELj3ELj512ELN6hipcub23BlockHistogramAlgorithmE1EjEvPT3_S3_.has_recursion, 0
	.set _Z16histogram_kernelILj256ELj3ELj512ELN6hipcub23BlockHistogramAlgorithmE1EjEvPT3_S3_.has_indirect_call, 0
	.section	.AMDGPU.csdata,"",@progbits
; Kernel info:
; codeLenInByte = 2828
; TotalNumSgprs: 46
; NumVgprs: 33
; ScratchSize: 0
; MemoryBound: 0
; FloatMode: 240
; IeeeMode: 1
; LDSByteSize: 8192 bytes/workgroup (compile time only)
; SGPRBlocks: 8
; VGPRBlocks: 8
; NumSGPRsForWavesPerEU: 65
; NumVGPRsForWavesPerEU: 33
; Occupancy: 7
; WaveLimiterHint : 0
; COMPUTE_PGM_RSRC2:SCRATCH_EN: 0
; COMPUTE_PGM_RSRC2:USER_SGPR: 6
; COMPUTE_PGM_RSRC2:TRAP_HANDLER: 0
; COMPUTE_PGM_RSRC2:TGID_X_EN: 1
; COMPUTE_PGM_RSRC2:TGID_Y_EN: 0
; COMPUTE_PGM_RSRC2:TGID_Z_EN: 0
; COMPUTE_PGM_RSRC2:TIDIG_COMP_CNT: 2
	.section	.text._Z16histogram_kernelILj32ELj2ELj64ELN6hipcub23BlockHistogramAlgorithmE1EjEvPT3_S3_,"axG",@progbits,_Z16histogram_kernelILj32ELj2ELj64ELN6hipcub23BlockHistogramAlgorithmE1EjEvPT3_S3_,comdat
	.protected	_Z16histogram_kernelILj32ELj2ELj64ELN6hipcub23BlockHistogramAlgorithmE1EjEvPT3_S3_ ; -- Begin function _Z16histogram_kernelILj32ELj2ELj64ELN6hipcub23BlockHistogramAlgorithmE1EjEvPT3_S3_
	.globl	_Z16histogram_kernelILj32ELj2ELj64ELN6hipcub23BlockHistogramAlgorithmE1EjEvPT3_S3_
	.p2align	8
	.type	_Z16histogram_kernelILj32ELj2ELj64ELN6hipcub23BlockHistogramAlgorithmE1EjEvPT3_S3_,@function
_Z16histogram_kernelILj32ELj2ELj64ELN6hipcub23BlockHistogramAlgorithmE1EjEvPT3_S3_: ; @_Z16histogram_kernelILj32ELj2ELj64ELN6hipcub23BlockHistogramAlgorithmE1EjEvPT3_S3_
; %bb.0:
	s_load_dwordx4 s[28:31], s[4:5], 0x0
	s_lshl_b32 s33, s6, 6
	v_lshlrev_b32_e32 v10, 1, v0
	v_or_b32_e32 v2, s33, v10
	v_mov_b32_e32 v3, 0
	v_lshlrev_b64 v[1:2], 2, v[2:3]
	s_waitcnt lgkmcnt(0)
	v_mov_b32_e32 v4, s29
	v_add_co_u32_e32 v1, vcc, s28, v1
	v_addc_co_u32_e32 v2, vcc, v4, v2, vcc
	global_load_dwordx2 v[1:2], v[1:2], off
	v_cmp_gt_u32_e64 s[2:3], 64, v0
	v_lshlrev_b32_e32 v9, 2, v0
	s_and_saveexec_b64 s[0:1], s[2:3]
; %bb.1:
	ds_write_b32 v9, v3 offset:1040
; %bb.2:
	s_or_b64 exec, exec, s[0:1]
	v_cmp_gt_u32_e64 s[0:1], 32, v0
	s_and_saveexec_b64 s[4:5], s[0:1]
; %bb.3:
	v_mov_b32_e32 v3, 0
	ds_write_b32 v9, v3 offset:1168
; %bb.4:
	s_or_b64 exec, exec, s[4:5]
	v_mbcnt_lo_u32_b32 v3, -1, 0
	v_mbcnt_hi_u32_b32 v3, -1, v3
	v_and_b32_e32 v4, 15, v3
	v_cmp_eq_u32_e64 s[6:7], 0, v4
	v_cmp_lt_u32_e64 s[8:9], 1, v4
	v_cmp_lt_u32_e64 s[10:11], 3, v4
	v_cmp_lt_u32_e64 s[12:13], 7, v4
	v_and_b32_e32 v4, 16, v3
	v_cmp_eq_u32_e64 s[14:15], 0, v4
	v_subrev_co_u32_e64 v4, s[18:19], 1, v3
	v_and_b32_e32 v5, 0x60, v3
	v_cmp_lt_i32_e32 vcc, v4, v5
	v_lshlrev_b32_e32 v11, 5, v0
	v_cndmask_b32_e32 v3, v4, v3, vcc
	s_movk_i32 s20, 0xffe8
	s_movk_i32 s4, 0x100
	;; [unrolled: 1-line block ×3, first 2 shown]
	v_lshlrev_b32_e32 v13, 2, v3
	v_mad_i32_i24 v12, v0, s20, v11
	v_sub_u32_e32 v3, 0, v9
	s_movk_i32 s36, 0xe0
	s_movk_i32 s22, 0xc0
	s_movk_i32 s24, 0xa0
	s_movk_i32 s26, 0x80
	v_cmp_gt_u32_e64 s[4:5], s4, v0
	v_cmp_eq_u32_e64 s[16:17], 31, v0
	v_cmp_gt_u32_e64 s[20:21], s36, v0
	v_cmp_gt_u32_e64 s[22:23], s22, v0
	;; [unrolled: 1-line block ×5, first 2 shown]
	v_mov_b32_e32 v15, 0
	v_add_u32_e32 v16, v12, v3
	v_mov_b32_e32 v18, 0
	s_waitcnt lgkmcnt(0)
	; wave barrier
	s_branch .LBB17_6
.LBB17_5:                               ;   in Loop: Header=BB17_6 Depth=1
	s_andn2_b64 vcc, exec, s[34:35]
	s_cbranch_vccz .LBB17_19
.LBB17_6:                               ; =>This Inner Loop Header: Depth=1
	s_waitcnt vmcnt(0)
	v_mov_b32_e32 v14, v2
	v_mov_b32_e32 v17, v1
	s_and_saveexec_b64 s[34:35], s[4:5]
	s_cbranch_execz .LBB17_15
; %bb.7:                                ;   in Loop: Header=BB17_6 Depth=1
	ds_write_b32 v16, v15
	s_and_b64 exec, exec, s[20:21]
	s_cbranch_execz .LBB17_15
; %bb.8:                                ;   in Loop: Header=BB17_6 Depth=1
	ds_write_b32 v16, v15 offset:128
	s_and_b64 exec, exec, s[22:23]
	s_cbranch_execz .LBB17_15
; %bb.9:                                ;   in Loop: Header=BB17_6 Depth=1
	ds_write_b32 v16, v15 offset:256
	s_and_b64 exec, exec, s[24:25]
	s_cbranch_execz .LBB17_15
; %bb.10:                               ;   in Loop: Header=BB17_6 Depth=1
	ds_write_b32 v16, v15 offset:384
	s_and_b64 exec, exec, s[26:27]
	s_cbranch_execz .LBB17_15
; %bb.11:                               ;   in Loop: Header=BB17_6 Depth=1
	;; [unrolled: 4-line block ×4, first 2 shown]
	ds_write_b32 v16, v15 offset:768
	s_and_b64 exec, exec, s[0:1]
; %bb.14:                               ;   in Loop: Header=BB17_6 Depth=1
	ds_write_b32 v16, v15 offset:896
.LBB17_15:                              ;   in Loop: Header=BB17_6 Depth=1
	s_or_b64 exec, exec, s[34:35]
	v_lshrrev_b32_e32 v1, v18, v17
	v_lshlrev_b32_e32 v2, 5, v1
	v_lshrrev_b32_e32 v1, 2, v1
	v_and_or_b32 v2, v2, s36, v0
	v_and_b32_e32 v1, 2, v1
	v_lshl_or_b32 v20, v2, 2, v1
	ds_read_u16 v19, v20
	v_lshrrev_b32_e32 v1, v18, v14
	v_lshlrev_b32_e32 v2, 5, v1
	v_lshrrev_b32_e32 v1, 2, v1
	v_and_or_b32 v2, v2, s36, v0
	s_waitcnt lgkmcnt(0)
	v_add_u16_e32 v3, 1, v19
	v_and_b32_e32 v1, 2, v1
	ds_write_b16 v20, v3
	v_lshl_or_b32 v22, v2, 2, v1
	ds_read_u16 v21, v22
	s_waitcnt lgkmcnt(0)
	v_add_u16_e32 v1, 1, v21
	ds_write_b16 v22, v1
	s_waitcnt lgkmcnt(0)
	; wave barrier
	ds_read2_b64 v[5:8], v11 offset1:1
	ds_read2_b64 v[1:4], v11 offset0:2 offset1:3
	s_waitcnt lgkmcnt(1)
	v_add_u32_e32 v23, v6, v5
	v_add3_u32 v23, v23, v7, v8
	s_waitcnt lgkmcnt(0)
	v_add3_u32 v23, v23, v1, v2
	v_add3_u32 v4, v23, v3, v4
	s_nop 1
	v_mov_b32_dpp v23, v4 row_shr:1 row_mask:0xf bank_mask:0xf
	v_cndmask_b32_e64 v23, v23, 0, s[6:7]
	v_add_u32_e32 v4, v23, v4
	s_nop 1
	v_mov_b32_dpp v23, v4 row_shr:2 row_mask:0xf bank_mask:0xf
	v_cndmask_b32_e64 v23, 0, v23, s[8:9]
	v_add_u32_e32 v4, v4, v23
	;; [unrolled: 4-line block ×4, first 2 shown]
	s_nop 1
	v_mov_b32_dpp v23, v4 row_bcast:15 row_mask:0xf bank_mask:0xf
	v_cndmask_b32_e64 v23, v23, 0, s[14:15]
	v_add_u32_e32 v4, v4, v23
	s_and_saveexec_b64 s[34:35], s[16:17]
; %bb.16:                               ;   in Loop: Header=BB17_6 Depth=1
	ds_write_b32 v15, v4 offset:1024
; %bb.17:                               ;   in Loop: Header=BB17_6 Depth=1
	s_or_b64 exec, exec, s[34:35]
	ds_bpermute_b32 v4, v13, v4
	s_waitcnt lgkmcnt(0)
	; wave barrier
	ds_read_b32 v23, v15 offset:1024
	v_cmp_lt_u32_e32 vcc, 27, v18
	v_cndmask_b32_e64 v4, v4, 0, s[18:19]
	s_and_b64 vcc, exec, vcc
	s_mov_b64 s[34:35], -1
	s_waitcnt lgkmcnt(0)
	v_lshl_add_u32 v4, v23, 16, v4
	v_add_u32_e32 v5, v4, v5
	v_add_u32_e32 v6, v5, v6
	;; [unrolled: 1-line block ×7, first 2 shown]
	ds_write2_b64 v11, v[4:5], v[6:7] offset1:1
	ds_write2_b64 v11, v[23:24], v[1:2] offset0:2 offset1:3
	s_waitcnt lgkmcnt(0)
	; wave barrier
	ds_read_u16 v1, v20
	ds_read_u16 v2, v22
	s_waitcnt lgkmcnt(1)
	v_add_u32_sdwa v4, v1, v19 dst_sel:DWORD dst_unused:UNUSED_PAD src0_sel:DWORD src1_sel:WORD_0
	s_waitcnt lgkmcnt(0)
	v_add_u32_sdwa v3, v2, v21 dst_sel:DWORD dst_unused:UNUSED_PAD src0_sel:DWORD src1_sel:WORD_0
                                        ; implicit-def: $vgpr2
	s_cbranch_vccnz .LBB17_5
; %bb.18:                               ;   in Loop: Header=BB17_6 Depth=1
	v_lshlrev_b32_e32 v1, 2, v4
	; wave barrier
	ds_write_b32 v1, v17
	v_lshlrev_b32_e32 v1, 2, v3
	ds_write_b32 v1, v14
	s_waitcnt lgkmcnt(0)
	; wave barrier
	ds_read_b64 v[1:2], v12
	v_add_u32_e32 v18, 4, v18
	s_mov_b64 s[34:35], 0
	s_waitcnt lgkmcnt(0)
	; wave barrier
	s_branch .LBB17_5
.LBB17_19:
	v_lshlrev_b32_e32 v1, 2, v4
	; wave barrier
	ds_write_b32 v1, v17
	v_lshlrev_b32_e32 v1, 2, v3
	ds_write_b32 v1, v14
	s_waitcnt lgkmcnt(0)
	; wave barrier
	ds_read_b64 v[1:2], v12
	s_waitcnt lgkmcnt(0)
	; wave barrier
	s_and_saveexec_b64 s[4:5], s[2:3]
	s_cbranch_execz .LBB17_22
; %bb.20:
	v_mov_b32_e32 v3, 64
	ds_write2st64_b32 v9, v3, v3 offset0:1 offset1:2
	s_and_b64 exec, exec, s[0:1]
; %bb.21:
	ds_write2_b32 v9, v3, v3 offset0:96 offset1:160
.LBB17_22:
	s_or_b64 exec, exec, s[4:5]
	v_cmp_ne_u32_e32 vcc, v1, v2
	v_lshlrev_b32_e32 v3, 2, v1
	s_waitcnt lgkmcnt(0)
	; wave barrier
	ds_write_b32 v9, v2
	s_and_saveexec_b64 s[4:5], vcc
	s_cbranch_execz .LBB17_24
; %bb.23:
	v_lshlrev_b32_e32 v2, 2, v2
	v_or_b32_e32 v4, 1, v10
	ds_write_b32 v2, v4 offset:256
	ds_write_b32 v3, v4 offset:512
.LBB17_24:
	s_or_b64 exec, exec, s[4:5]
	v_cmp_eq_u32_e32 vcc, 0, v0
	v_cmp_ne_u32_e64 s[4:5], 0, v0
	s_waitcnt lgkmcnt(0)
	; wave barrier
	s_and_saveexec_b64 s[6:7], s[4:5]
	s_cbranch_execz .LBB17_27
; %bb.25:
	v_add_u32_e32 v2, -4, v9
	ds_read_b32 v4, v2
	s_waitcnt lgkmcnt(0)
	v_cmp_ne_u32_e64 s[4:5], v4, v1
	s_and_b64 exec, exec, s[4:5]
	s_cbranch_execz .LBB17_27
; %bb.26:
	ds_write_b32 v3, v10 offset:256
	ds_read_b32 v1, v2
	s_waitcnt lgkmcnt(0)
	v_lshlrev_b32_e32 v1, 2, v1
	ds_write_b32 v1, v10 offset:512
.LBB17_27:
	s_or_b64 exec, exec, s[6:7]
	s_waitcnt lgkmcnt(0)
	; wave barrier
	s_and_saveexec_b64 s[4:5], vcc
; %bb.28:
	v_mov_b32_e32 v1, 0
	ds_write_b32 v3, v1 offset:256
; %bb.29:
	s_or_b64 exec, exec, s[4:5]
	s_waitcnt lgkmcnt(0)
	; wave barrier
	s_and_saveexec_b64 s[4:5], s[2:3]
	s_cbranch_execz .LBB17_31
; %bb.30:
	ds_read2st64_b32 v[1:2], v9 offset0:1 offset1:2
	ds_read_b32 v3, v9 offset:1040
	s_waitcnt lgkmcnt(1)
	v_sub_u32_e32 v1, v2, v1
	s_waitcnt lgkmcnt(0)
	v_add_u32_e32 v1, v1, v3
	ds_write_b32 v9, v1 offset:1040
.LBB17_31:
	s_or_b64 exec, exec, s[4:5]
	s_and_saveexec_b64 s[4:5], s[0:1]
	s_cbranch_execz .LBB17_33
; %bb.32:
	ds_read2_b32 v[1:2], v9 offset0:96 offset1:160
	ds_read_b32 v3, v9 offset:1168
	s_waitcnt lgkmcnt(1)
	v_sub_u32_e32 v1, v2, v1
	s_waitcnt lgkmcnt(0)
	v_add_u32_e32 v1, v1, v3
	ds_write_b32 v9, v1 offset:1168
.LBB17_33:
	s_or_b64 exec, exec, s[4:5]
	v_mov_b32_e32 v1, s33
	s_waitcnt lgkmcnt(0)
	; wave barrier
	s_and_saveexec_b64 s[4:5], s[2:3]
	s_cbranch_execnz .LBB17_36
; %bb.34:
	s_or_b64 exec, exec, s[4:5]
	s_and_saveexec_b64 s[2:3], s[0:1]
	s_cbranch_execnz .LBB17_37
.LBB17_35:
	s_endpgm
.LBB17_36:
	v_or_b32_e32 v1, s33, v0
	v_mov_b32_e32 v2, 0
	ds_read_b32 v4, v9 offset:1040
	v_lshlrev_b64 v[1:2], 2, v[1:2]
	v_mov_b32_e32 v3, s31
	v_add_co_u32_e32 v1, vcc, s30, v1
	s_or_b32 s2, s33, 32
	v_addc_co_u32_e32 v2, vcc, v3, v2, vcc
	s_waitcnt lgkmcnt(0)
	global_store_dword v[1:2], v4, off
	v_mov_b32_e32 v1, s2
	s_or_b64 exec, exec, s[4:5]
	s_and_saveexec_b64 s[2:3], s[0:1]
	s_cbranch_execz .LBB17_35
.LBB17_37:
	v_add_u32_e32 v0, v1, v0
	v_mov_b32_e32 v1, 0
	ds_read_b32 v3, v9 offset:1168
	v_lshlrev_b64 v[0:1], 2, v[0:1]
	v_mov_b32_e32 v2, s31
	v_add_co_u32_e32 v0, vcc, s30, v0
	v_addc_co_u32_e32 v1, vcc, v2, v1, vcc
	s_waitcnt lgkmcnt(0)
	global_store_dword v[0:1], v3, off
	s_endpgm
	.section	.rodata,"a",@progbits
	.p2align	6, 0x0
	.amdhsa_kernel _Z16histogram_kernelILj32ELj2ELj64ELN6hipcub23BlockHistogramAlgorithmE1EjEvPT3_S3_
		.amdhsa_group_segment_fixed_size 1296
		.amdhsa_private_segment_fixed_size 0
		.amdhsa_kernarg_size 16
		.amdhsa_user_sgpr_count 6
		.amdhsa_user_sgpr_private_segment_buffer 1
		.amdhsa_user_sgpr_dispatch_ptr 0
		.amdhsa_user_sgpr_queue_ptr 0
		.amdhsa_user_sgpr_kernarg_segment_ptr 1
		.amdhsa_user_sgpr_dispatch_id 0
		.amdhsa_user_sgpr_flat_scratch_init 0
		.amdhsa_user_sgpr_private_segment_size 0
		.amdhsa_uses_dynamic_stack 0
		.amdhsa_system_sgpr_private_segment_wavefront_offset 0
		.amdhsa_system_sgpr_workgroup_id_x 1
		.amdhsa_system_sgpr_workgroup_id_y 0
		.amdhsa_system_sgpr_workgroup_id_z 0
		.amdhsa_system_sgpr_workgroup_info 0
		.amdhsa_system_vgpr_workitem_id 0
		.amdhsa_next_free_vgpr 25
		.amdhsa_next_free_sgpr 37
		.amdhsa_reserve_vcc 1
		.amdhsa_reserve_flat_scratch 0
		.amdhsa_float_round_mode_32 0
		.amdhsa_float_round_mode_16_64 0
		.amdhsa_float_denorm_mode_32 3
		.amdhsa_float_denorm_mode_16_64 3
		.amdhsa_dx10_clamp 1
		.amdhsa_ieee_mode 1
		.amdhsa_fp16_overflow 0
		.amdhsa_exception_fp_ieee_invalid_op 0
		.amdhsa_exception_fp_denorm_src 0
		.amdhsa_exception_fp_ieee_div_zero 0
		.amdhsa_exception_fp_ieee_overflow 0
		.amdhsa_exception_fp_ieee_underflow 0
		.amdhsa_exception_fp_ieee_inexact 0
		.amdhsa_exception_int_div_zero 0
	.end_amdhsa_kernel
	.section	.text._Z16histogram_kernelILj32ELj2ELj64ELN6hipcub23BlockHistogramAlgorithmE1EjEvPT3_S3_,"axG",@progbits,_Z16histogram_kernelILj32ELj2ELj64ELN6hipcub23BlockHistogramAlgorithmE1EjEvPT3_S3_,comdat
.Lfunc_end17:
	.size	_Z16histogram_kernelILj32ELj2ELj64ELN6hipcub23BlockHistogramAlgorithmE1EjEvPT3_S3_, .Lfunc_end17-_Z16histogram_kernelILj32ELj2ELj64ELN6hipcub23BlockHistogramAlgorithmE1EjEvPT3_S3_
                                        ; -- End function
	.set _Z16histogram_kernelILj32ELj2ELj64ELN6hipcub23BlockHistogramAlgorithmE1EjEvPT3_S3_.num_vgpr, 25
	.set _Z16histogram_kernelILj32ELj2ELj64ELN6hipcub23BlockHistogramAlgorithmE1EjEvPT3_S3_.num_agpr, 0
	.set _Z16histogram_kernelILj32ELj2ELj64ELN6hipcub23BlockHistogramAlgorithmE1EjEvPT3_S3_.numbered_sgpr, 37
	.set _Z16histogram_kernelILj32ELj2ELj64ELN6hipcub23BlockHistogramAlgorithmE1EjEvPT3_S3_.num_named_barrier, 0
	.set _Z16histogram_kernelILj32ELj2ELj64ELN6hipcub23BlockHistogramAlgorithmE1EjEvPT3_S3_.private_seg_size, 0
	.set _Z16histogram_kernelILj32ELj2ELj64ELN6hipcub23BlockHistogramAlgorithmE1EjEvPT3_S3_.uses_vcc, 1
	.set _Z16histogram_kernelILj32ELj2ELj64ELN6hipcub23BlockHistogramAlgorithmE1EjEvPT3_S3_.uses_flat_scratch, 0
	.set _Z16histogram_kernelILj32ELj2ELj64ELN6hipcub23BlockHistogramAlgorithmE1EjEvPT3_S3_.has_dyn_sized_stack, 0
	.set _Z16histogram_kernelILj32ELj2ELj64ELN6hipcub23BlockHistogramAlgorithmE1EjEvPT3_S3_.has_recursion, 0
	.set _Z16histogram_kernelILj32ELj2ELj64ELN6hipcub23BlockHistogramAlgorithmE1EjEvPT3_S3_.has_indirect_call, 0
	.section	.AMDGPU.csdata,"",@progbits
; Kernel info:
; codeLenInByte = 1480
; TotalNumSgprs: 41
; NumVgprs: 25
; ScratchSize: 0
; MemoryBound: 0
; FloatMode: 240
; IeeeMode: 1
; LDSByteSize: 1296 bytes/workgroup (compile time only)
; SGPRBlocks: 5
; VGPRBlocks: 6
; NumSGPRsForWavesPerEU: 41
; NumVGPRsForWavesPerEU: 25
; Occupancy: 9
; WaveLimiterHint : 0
; COMPUTE_PGM_RSRC2:SCRATCH_EN: 0
; COMPUTE_PGM_RSRC2:USER_SGPR: 6
; COMPUTE_PGM_RSRC2:TRAP_HANDLER: 0
; COMPUTE_PGM_RSRC2:TGID_X_EN: 1
; COMPUTE_PGM_RSRC2:TGID_Y_EN: 0
; COMPUTE_PGM_RSRC2:TGID_Z_EN: 0
; COMPUTE_PGM_RSRC2:TIDIG_COMP_CNT: 0
	.section	.text._Z16histogram_kernelILj6ELj32ELj18ELN6hipcub23BlockHistogramAlgorithmE1EjEvPT3_S3_,"axG",@progbits,_Z16histogram_kernelILj6ELj32ELj18ELN6hipcub23BlockHistogramAlgorithmE1EjEvPT3_S3_,comdat
	.protected	_Z16histogram_kernelILj6ELj32ELj18ELN6hipcub23BlockHistogramAlgorithmE1EjEvPT3_S3_ ; -- Begin function _Z16histogram_kernelILj6ELj32ELj18ELN6hipcub23BlockHistogramAlgorithmE1EjEvPT3_S3_
	.globl	_Z16histogram_kernelILj6ELj32ELj18ELN6hipcub23BlockHistogramAlgorithmE1EjEvPT3_S3_
	.p2align	8
	.type	_Z16histogram_kernelILj6ELj32ELj18ELN6hipcub23BlockHistogramAlgorithmE1EjEvPT3_S3_,@function
_Z16histogram_kernelILj6ELj32ELj18ELN6hipcub23BlockHistogramAlgorithmE1EjEvPT3_S3_: ; @_Z16histogram_kernelILj6ELj32ELj18ELN6hipcub23BlockHistogramAlgorithmE1EjEvPT3_S3_
; %bb.0:
	s_load_dwordx4 s[28:31], s[4:5], 0x0
	s_mul_i32 s0, s6, 6
	v_add_lshl_u32 v32, s0, v0, 5
	v_mov_b32_e32 v33, 0
	v_lshlrev_b64 v[1:2], 2, v[32:33]
	s_waitcnt lgkmcnt(0)
	v_mov_b32_e32 v3, s29
	v_add_co_u32_e32 v34, vcc, s28, v1
	v_addc_co_u32_e32 v35, vcc, v3, v2, vcc
	global_load_dwordx4 v[1:4], v[34:35], off
	global_load_dwordx4 v[5:8], v[34:35], off offset:16
	global_load_dwordx4 v[9:12], v[34:35], off offset:32
	;; [unrolled: 1-line block ×7, first 2 shown]
	v_cmp_gt_u32_e64 s[4:5], 18, v0
	v_lshlrev_b32_e32 v34, 2, v0
	s_and_saveexec_b64 s[0:1], s[4:5]
	s_cbranch_execnz .LBB18_98
; %bb.1:
	s_or_b64 exec, exec, s[0:1]
	v_cmp_gt_u32_e64 s[2:3], 12, v0
	s_and_saveexec_b64 s[0:1], s[2:3]
	s_cbranch_execnz .LBB18_99
.LBB18_2:
	s_or_b64 exec, exec, s[0:1]
	v_cmp_gt_u32_e64 s[0:1], 6, v0
	s_and_saveexec_b64 s[8:9], s[0:1]
.LBB18_3:
	v_mov_b32_e32 v33, 0
	ds_write_b32 v34, v33 offset:816
.LBB18_4:
	s_or_b64 exec, exec, s[8:9]
	v_mbcnt_lo_u32_b32 v35, -1, 0
	v_mbcnt_hi_u32_b32 v35, -1, v35
	v_and_b32_e32 v36, 7, v35
	v_cmp_eq_u32_e64 s[8:9], 0, v36
	v_cmp_lt_u32_e64 s[10:11], 1, v36
	v_cmp_lt_u32_e64 s[12:13], 3, v36
	v_subrev_co_u32_e64 v36, s[16:17], 1, v35
	v_and_b32_e32 v37, 0x78, v35
	v_cmp_lt_i32_e32 vcc, v36, v37
	v_lshlrev_b32_e32 v33, 5, v0
	v_cndmask_b32_e32 v35, v36, v35, vcc
	s_movk_i32 s7, 0x60
	v_lshlrev_b32_e32 v44, 2, v35
	v_mad_u32_u24 v35, v0, s7, v33
	v_mul_i32_i24_e32 v36, 0xffffff84, v0
	v_cmp_gt_u32_e64 s[26:27], 48, v0
	v_cmp_eq_u32_e64 s[14:15], 5, v0
	v_cmp_gt_u32_e64 s[18:19], 42, v0
	v_cmp_gt_u32_e64 s[20:21], 36, v0
	;; [unrolled: 1-line block ×4, first 2 shown]
	v_mov_b32_e32 v48, 0
	v_add_u32_e32 v49, v35, v36
	v_mov_b32_e32 v51, 0
	s_waitcnt lgkmcnt(0)
	; wave barrier
	s_branch .LBB18_6
.LBB18_5:                               ;   in Loop: Header=BB18_6 Depth=1
	s_andn2_b64 vcc, exec, s[28:29]
	s_cbranch_vccz .LBB18_19
.LBB18_6:                               ; =>This Inner Loop Header: Depth=1
	s_waitcnt vmcnt(0)
	v_mov_b32_e32 v36, v32
	v_mov_b32_e32 v37, v31
	v_mov_b32_e32 v38, v30
	v_mov_b32_e32 v39, v29
	v_mov_b32_e32 v40, v28
	v_mov_b32_e32 v41, v27
	v_mov_b32_e32 v42, v26
	v_mov_b32_e32 v43, v25
	v_mov_b32_e32 v45, v24
	v_mov_b32_e32 v46, v23
	v_mov_b32_e32 v47, v22
	v_mov_b32_e32 v50, v21
	v_mov_b32_e32 v52, v20
	v_mov_b32_e32 v53, v19
	v_mov_b32_e32 v54, v18
	v_mov_b32_e32 v55, v17
	v_mov_b32_e32 v56, v16
	v_mov_b32_e32 v57, v15
	v_mov_b32_e32 v58, v14
	v_mov_b32_e32 v59, v13
	v_mov_b32_e32 v60, v12
	v_mov_b32_e32 v61, v11
	v_mov_b32_e32 v62, v10
	v_mov_b32_e32 v63, v9
	v_mov_b32_e32 v64, v8
	v_mov_b32_e32 v65, v7
	v_mov_b32_e32 v66, v6
	v_mov_b32_e32 v67, v5
	v_mov_b32_e32 v68, v4
	v_mov_b32_e32 v69, v3
	v_mov_b32_e32 v70, v2
	v_mov_b32_e32 v71, v1
	s_and_saveexec_b64 s[28:29], s[26:27]
	s_cbranch_execz .LBB18_15
; %bb.7:                                ;   in Loop: Header=BB18_6 Depth=1
	ds_write_b32 v49, v48
	s_and_b64 exec, exec, s[18:19]
	s_cbranch_execz .LBB18_15
; %bb.8:                                ;   in Loop: Header=BB18_6 Depth=1
	ds_write_b32 v49, v48 offset:24
	s_and_b64 exec, exec, s[20:21]
	s_cbranch_execz .LBB18_15
; %bb.9:                                ;   in Loop: Header=BB18_6 Depth=1
	ds_write_b32 v49, v48 offset:48
	s_and_b64 exec, exec, s[22:23]
	s_cbranch_execz .LBB18_15
; %bb.10:                               ;   in Loop: Header=BB18_6 Depth=1
	ds_write_b32 v49, v48 offset:72
	s_and_b64 exec, exec, s[24:25]
	s_cbranch_execz .LBB18_15
; %bb.11:                               ;   in Loop: Header=BB18_6 Depth=1
	;; [unrolled: 4-line block ×4, first 2 shown]
	ds_write_b32 v49, v48 offset:144
	s_and_b64 exec, exec, s[0:1]
; %bb.14:                               ;   in Loop: Header=BB18_6 Depth=1
	ds_write_b32 v49, v48 offset:168
.LBB18_15:                              ;   in Loop: Header=BB18_6 Depth=1
	s_or_b64 exec, exec, s[28:29]
	v_lshrrev_b32_e32 v1, v51, v71
	v_bfe_u32 v2, v71, v51, 3
	v_lshrrev_b32_e32 v1, 2, v1
	v_mad_u32_u24 v2, v2, 6, v0
	v_and_b32_e32 v1, 2, v1
	v_lshl_or_b32 v11, v2, 2, v1
	ds_read_u16 v9, v11
	v_lshrrev_b32_e32 v1, v51, v70
	v_bfe_u32 v2, v70, v51, 3
	v_lshrrev_b32_e32 v1, 2, v1
	v_mad_u32_u24 v2, v2, 6, v0
	s_waitcnt lgkmcnt(0)
	v_add_u16_e32 v3, 1, v9
	v_and_b32_e32 v1, 2, v1
	ds_write_b16 v11, v3
	v_lshl_or_b32 v13, v2, 2, v1
	ds_read_u16 v10, v13
	v_bfe_u32 v2, v69, v51, 3
	v_mad_u32_u24 v2, v2, 6, v0
	s_waitcnt lgkmcnt(0)
	v_add_u16_e32 v1, 1, v10
	ds_write_b16 v13, v1
	v_lshrrev_b32_e32 v1, v51, v69
	v_lshrrev_b32_e32 v1, 2, v1
	v_and_b32_e32 v1, 2, v1
	v_lshl_or_b32 v15, v2, 2, v1
	ds_read_u16 v12, v15
	v_bfe_u32 v2, v68, v51, 3
	v_mad_u32_u24 v2, v2, 6, v0
	s_waitcnt lgkmcnt(0)
	v_add_u16_e32 v1, 1, v12
	ds_write_b16 v15, v1
	v_lshrrev_b32_e32 v1, v51, v68
	v_lshrrev_b32_e32 v1, 2, v1
	v_and_b32_e32 v1, 2, v1
	v_lshl_or_b32 v17, v2, 2, v1
	ds_read_u16 v14, v17
	v_lshrrev_b32_e32 v2, v51, v67
	v_lshrrev_b32_e32 v2, 2, v2
	v_and_b32_e32 v2, 2, v2
	s_waitcnt lgkmcnt(0)
	v_add_u16_e32 v1, 1, v14
	ds_write_b16 v17, v1
	v_bfe_u32 v1, v67, v51, 3
	v_mad_u32_u24 v1, v1, 6, v0
	v_lshl_or_b32 v19, v1, 2, v2
	ds_read_u16 v16, v19
	v_lshrrev_b32_e32 v2, v51, v66
	v_lshrrev_b32_e32 v2, 2, v2
	v_and_b32_e32 v2, 2, v2
	s_waitcnt lgkmcnt(0)
	v_add_u16_e32 v1, 1, v16
	ds_write_b16 v19, v1
	v_bfe_u32 v1, v66, v51, 3
	v_mad_u32_u24 v1, v1, 6, v0
	;; [unrolled: 10-line block ×28, first 2 shown]
	v_lshl_or_b32 v121, v1, 2, v2
	ds_read_u16 v120, v121
	s_waitcnt lgkmcnt(0)
	v_add_u16_e32 v1, 1, v120
	ds_write_b16 v121, v1
	s_waitcnt lgkmcnt(0)
	; wave barrier
	ds_read2_b64 v[5:8], v33 offset1:1
	ds_read2_b64 v[1:4], v33 offset0:2 offset1:3
	s_waitcnt lgkmcnt(1)
	v_add_u32_e32 v72, v6, v5
	v_add3_u32 v72, v72, v7, v8
	s_waitcnt lgkmcnt(0)
	v_add3_u32 v72, v72, v1, v2
	v_add3_u32 v4, v72, v3, v4
	s_nop 1
	v_mov_b32_dpp v72, v4 row_shr:1 row_mask:0xf bank_mask:0xf
	v_cndmask_b32_e64 v72, v72, 0, s[8:9]
	v_add_u32_e32 v4, v72, v4
	s_nop 1
	v_mov_b32_dpp v72, v4 row_shr:2 row_mask:0xf bank_mask:0xf
	v_cndmask_b32_e64 v72, 0, v72, s[10:11]
	v_add_u32_e32 v4, v4, v72
	;; [unrolled: 4-line block ×3, first 2 shown]
	s_and_saveexec_b64 s[28:29], s[14:15]
; %bb.16:                               ;   in Loop: Header=BB18_6 Depth=1
	ds_write_b32 v48, v4 offset:192
; %bb.17:                               ;   in Loop: Header=BB18_6 Depth=1
	s_or_b64 exec, exec, s[28:29]
	ds_bpermute_b32 v4, v44, v4
	s_waitcnt lgkmcnt(0)
	; wave barrier
	ds_read_b32 v72, v48 offset:192
	v_cmp_lt_u32_e32 vcc, 27, v51
	v_cndmask_b32_e64 v4, v4, 0, s[16:17]
	s_and_b64 vcc, exec, vcc
	s_mov_b64 s[28:29], -1
	s_waitcnt lgkmcnt(0)
	v_lshl_add_u32 v4, v72, 16, v4
	v_add_u32_e32 v5, v4, v5
	v_add_u32_e32 v6, v5, v6
	;; [unrolled: 1-line block ×7, first 2 shown]
	ds_write2_b64 v33, v[4:5], v[6:7] offset1:1
	ds_write2_b64 v33, v[72:73], v[1:2] offset0:2 offset1:3
	s_waitcnt lgkmcnt(0)
	; wave barrier
	ds_read_u16 v1, v11
	ds_read_u16 v2, v13
	ds_read_u16 v3, v15
	ds_read_u16 v4, v17
	ds_read_u16 v5, v19
	ds_read_u16 v6, v20
	ds_read_u16 v7, v23
	ds_read_u16 v8, v26
	s_waitcnt lgkmcnt(7)
	v_add_u32_sdwa v79, v1, v9 dst_sel:DWORD dst_unused:UNUSED_PAD src0_sel:DWORD src1_sel:WORD_0
	s_waitcnt lgkmcnt(6)
	v_add_u32_sdwa v78, v2, v10 dst_sel:DWORD dst_unused:UNUSED_PAD src0_sel:DWORD src1_sel:WORD_0
	s_waitcnt lgkmcnt(5)
	v_add_u32_sdwa v77, v3, v12 dst_sel:DWORD dst_unused:UNUSED_PAD src0_sel:DWORD src1_sel:WORD_0
	s_waitcnt lgkmcnt(4)
	v_add_u32_sdwa v76, v4, v14 dst_sel:DWORD dst_unused:UNUSED_PAD src0_sel:DWORD src1_sel:WORD_0
	s_waitcnt lgkmcnt(3)
	v_add_u32_sdwa v75, v5, v16 dst_sel:DWORD dst_unused:UNUSED_PAD src0_sel:DWORD src1_sel:WORD_0
	s_waitcnt lgkmcnt(2)
	v_add_u32_sdwa v74, v6, v18 dst_sel:DWORD dst_unused:UNUSED_PAD src0_sel:DWORD src1_sel:WORD_0
	s_waitcnt lgkmcnt(1)
	v_add_u32_sdwa v73, v7, v21 dst_sel:DWORD dst_unused:UNUSED_PAD src0_sel:DWORD src1_sel:WORD_0
	s_waitcnt lgkmcnt(0)
	v_add_u32_sdwa v72, v8, v24 dst_sel:DWORD dst_unused:UNUSED_PAD src0_sel:DWORD src1_sel:WORD_0
	ds_read_u16 v1, v27
	ds_read_u16 v2, v29
	ds_read_u16 v3, v31
	ds_read_u16 v4, v80
	ds_read_u16 v5, v82
	ds_read_u16 v6, v83
	ds_read_u16 v7, v84
	ds_read_u16 v8, v85
	s_waitcnt lgkmcnt(7)
	v_add_u32_sdwa v87, v1, v22 dst_sel:DWORD dst_unused:UNUSED_PAD src0_sel:DWORD src1_sel:WORD_0
	s_waitcnt lgkmcnt(6)
	v_add_u32_sdwa v86, v2, v25 dst_sel:DWORD dst_unused:UNUSED_PAD src0_sel:DWORD src1_sel:WORD_0
	s_waitcnt lgkmcnt(5)
	v_add_u32_sdwa v85, v3, v28 dst_sel:DWORD dst_unused:UNUSED_PAD src0_sel:DWORD src1_sel:WORD_0
	s_waitcnt lgkmcnt(4)
	v_add_u32_sdwa v84, v4, v30 dst_sel:DWORD dst_unused:UNUSED_PAD src0_sel:DWORD src1_sel:WORD_0
	s_waitcnt lgkmcnt(3)
	v_add_u32_sdwa v83, v5, v32 dst_sel:DWORD dst_unused:UNUSED_PAD src0_sel:DWORD src1_sel:WORD_0
	s_waitcnt lgkmcnt(2)
	v_add_u32_sdwa v82, v6, v81 dst_sel:DWORD dst_unused:UNUSED_PAD src0_sel:DWORD src1_sel:WORD_0
	s_waitcnt lgkmcnt(1)
	v_add_u32_sdwa v81, v7, v88 dst_sel:DWORD dst_unused:UNUSED_PAD src0_sel:DWORD src1_sel:WORD_0
	s_waitcnt lgkmcnt(0)
	v_add_u32_sdwa v80, v8, v90 dst_sel:DWORD dst_unused:UNUSED_PAD src0_sel:DWORD src1_sel:WORD_0
	;; [unrolled: 24-line block ×4, first 2 shown]
                                        ; implicit-def: $vgpr32
                                        ; implicit-def: $vgpr28
                                        ; implicit-def: $vgpr24
                                        ; implicit-def: $vgpr20
                                        ; implicit-def: $vgpr16
                                        ; implicit-def: $vgpr12
                                        ; implicit-def: $vgpr8
                                        ; implicit-def: $vgpr4
	s_cbranch_vccnz .LBB18_5
; %bb.18:                               ;   in Loop: Header=BB18_6 Depth=1
	v_lshlrev_b32_e32 v1, 2, v79
	; wave barrier
	ds_write_b32 v1, v71
	v_lshlrev_b32_e32 v1, 2, v78
	ds_write_b32 v1, v70
	v_lshlrev_b32_e32 v1, 2, v77
	;; [unrolled: 2-line block ×31, first 2 shown]
	ds_write_b32 v1, v36
	s_waitcnt lgkmcnt(0)
	; wave barrier
	ds_read2_b64 v[1:4], v35 offset1:1
	ds_read2_b64 v[5:8], v35 offset0:2 offset1:3
	ds_read2_b64 v[9:12], v35 offset0:4 offset1:5
	;; [unrolled: 1-line block ×7, first 2 shown]
	v_add_u32_e32 v51, 4, v51
	s_mov_b64 s[28:29], 0
	s_waitcnt lgkmcnt(0)
	; wave barrier
	s_branch .LBB18_5
.LBB18_19:
	v_lshlrev_b32_e32 v1, 2, v79
	; wave barrier
	ds_write_b32 v1, v71
	v_lshlrev_b32_e32 v1, 2, v78
	ds_write_b32 v1, v70
	v_lshlrev_b32_e32 v1, 2, v77
	;; [unrolled: 2-line block ×31, first 2 shown]
	ds_write_b32 v1, v36
	s_waitcnt lgkmcnt(0)
	; wave barrier
	ds_read2_b64 v[1:4], v35 offset1:1
	ds_read2_b64 v[5:8], v35 offset0:2 offset1:3
	ds_read2_b64 v[9:12], v35 offset0:4 offset1:5
	;; [unrolled: 1-line block ×7, first 2 shown]
	s_waitcnt lgkmcnt(0)
	; wave barrier
	s_and_saveexec_b64 s[8:9], s[4:5]
	s_cbranch_execz .LBB18_23
; %bb.20:
	v_mov_b32_e32 v35, 0xc0
	ds_write2_b32 v34, v35, v35 offset0:12 offset1:30
	s_and_b64 exec, exec, s[2:3]
	s_cbranch_execz .LBB18_23
; %bb.21:
	ds_write2_b32 v34, v35, v35 offset0:18 offset1:36
	s_and_saveexec_b64 s[10:11], s[0:1]
	s_xor_b64 s[10:11], exec, s[10:11]
; %bb.22:
	v_mov_b32_e32 v35, 0xc0
	ds_write2_b32 v34, v35, v35 offset0:24 offset1:42
.LBB18_23:
	s_or_b64 exec, exec, s[8:9]
	v_cmp_ne_u32_e32 vcc, v31, v32
	v_lshlrev_b32_e32 v35, 2, v31
	s_waitcnt lgkmcnt(0)
	; wave barrier
	ds_write_b32 v34, v32
	s_and_saveexec_b64 s[8:9], vcc
	s_cbranch_execz .LBB18_25
; %bb.24:
	v_lshlrev_b32_e32 v32, 2, v32
	v_or_b32_e32 v36, 31, v33
	ds_write_b32 v32, v36 offset:48
	ds_write_b32 v35, v36 offset:120
.LBB18_25:
	s_or_b64 exec, exec, s[8:9]
	v_cmp_ne_u32_e32 vcc, v30, v31
	v_lshlrev_b32_e32 v31, 2, v30
	s_and_saveexec_b64 s[8:9], vcc
	s_cbranch_execz .LBB18_27
; %bb.26:
	v_or_b32_e32 v32, 30, v33
	ds_write_b32 v35, v32 offset:48
	ds_write_b32 v31, v32 offset:120
.LBB18_27:
	s_or_b64 exec, exec, s[8:9]
	v_cmp_ne_u32_e32 vcc, v29, v30
	v_lshlrev_b32_e32 v30, 2, v29
	s_and_saveexec_b64 s[8:9], vcc
	s_cbranch_execz .LBB18_29
; %bb.28:
	v_or_b32_e32 v32, 29, v33
	ds_write_b32 v31, v32 offset:48
	ds_write_b32 v30, v32 offset:120
.LBB18_29:
	;; [unrolled: 10-line block ×30, first 2 shown]
	s_or_b64 exec, exec, s[8:9]
	v_cmp_eq_u32_e32 vcc, 0, v0
	v_cmp_ne_u32_e64 s[8:9], 0, v0
	s_waitcnt lgkmcnt(0)
	; wave barrier
	s_and_saveexec_b64 s[10:11], s[8:9]
	s_cbranch_execz .LBB18_88
; %bb.86:
	v_add_u32_e32 v3, -4, v34
	ds_read_b32 v4, v3
	s_waitcnt lgkmcnt(0)
	v_cmp_ne_u32_e64 s[8:9], v4, v1
	s_and_b64 exec, exec, s[8:9]
	s_cbranch_execz .LBB18_88
; %bb.87:
	ds_write_b32 v2, v33 offset:48
	ds_read_b32 v1, v3
	s_waitcnt lgkmcnt(0)
	v_lshlrev_b32_e32 v1, 2, v1
	ds_write_b32 v1, v33 offset:120
.LBB18_88:
	s_or_b64 exec, exec, s[10:11]
	s_waitcnt lgkmcnt(0)
	; wave barrier
	s_and_saveexec_b64 s[8:9], vcc
; %bb.89:
	v_mov_b32_e32 v1, 0
	ds_write_b32 v2, v1 offset:48
; %bb.90:
	s_or_b64 exec, exec, s[8:9]
	s_waitcnt lgkmcnt(0)
	; wave barrier
	s_and_saveexec_b64 s[8:9], s[4:5]
	s_cbranch_execnz .LBB18_100
; %bb.91:
	s_or_b64 exec, exec, s[8:9]
	s_and_saveexec_b64 s[8:9], s[2:3]
	s_cbranch_execnz .LBB18_101
.LBB18_92:
	s_or_b64 exec, exec, s[8:9]
	s_and_saveexec_b64 s[8:9], s[0:1]
	s_cbranch_execz .LBB18_94
.LBB18_93:
	ds_read2_b32 v[1:2], v34 offset0:24 offset1:42
	ds_read_b32 v3, v34 offset:816
	s_waitcnt lgkmcnt(1)
	v_sub_u32_e32 v1, v2, v1
	s_waitcnt lgkmcnt(0)
	v_add_u32_e32 v1, v1, v3
	ds_write_b32 v34, v1 offset:816
.LBB18_94:
	s_or_b64 exec, exec, s[8:9]
	s_mul_i32 s8, s6, 18
	v_mov_b32_e32 v1, s8
	s_waitcnt lgkmcnt(0)
	; wave barrier
	s_and_saveexec_b64 s[6:7], s[4:5]
	s_cbranch_execnz .LBB18_102
; %bb.95:
	s_or_b64 exec, exec, s[6:7]
	s_and_saveexec_b64 s[4:5], s[2:3]
	s_cbranch_execnz .LBB18_103
.LBB18_96:
	s_or_b64 exec, exec, s[4:5]
	s_and_saveexec_b64 s[2:3], s[0:1]
	s_cbranch_execnz .LBB18_104
.LBB18_97:
	s_endpgm
.LBB18_98:
	ds_write_b32 v34, v33 offset:768
	s_or_b64 exec, exec, s[0:1]
	v_cmp_gt_u32_e64 s[2:3], 12, v0
	s_and_saveexec_b64 s[0:1], s[2:3]
	s_cbranch_execz .LBB18_2
.LBB18_99:
	v_mov_b32_e32 v33, 0
	ds_write_b32 v34, v33 offset:792
	s_or_b64 exec, exec, s[0:1]
	v_cmp_gt_u32_e64 s[0:1], 6, v0
	s_and_saveexec_b64 s[8:9], s[0:1]
	s_cbranch_execnz .LBB18_3
	s_branch .LBB18_4
.LBB18_100:
	ds_read2_b32 v[1:2], v34 offset0:12 offset1:30
	ds_read_b32 v3, v34 offset:768
	s_waitcnt lgkmcnt(1)
	v_sub_u32_e32 v1, v2, v1
	s_waitcnt lgkmcnt(0)
	v_add_u32_e32 v1, v1, v3
	ds_write_b32 v34, v1 offset:768
	s_or_b64 exec, exec, s[8:9]
	s_and_saveexec_b64 s[8:9], s[2:3]
	s_cbranch_execz .LBB18_92
.LBB18_101:
	ds_read2_b32 v[1:2], v34 offset0:18 offset1:36
	ds_read_b32 v3, v34 offset:792
	s_waitcnt lgkmcnt(1)
	v_sub_u32_e32 v1, v2, v1
	s_waitcnt lgkmcnt(0)
	v_add_u32_e32 v1, v1, v3
	ds_write_b32 v34, v1 offset:792
	s_or_b64 exec, exec, s[8:9]
	s_and_saveexec_b64 s[8:9], s[0:1]
	s_cbranch_execnz .LBB18_93
	s_branch .LBB18_94
.LBB18_102:
	v_add_u32_e32 v1, s8, v0
	v_mov_b32_e32 v2, 0
	ds_read_b32 v4, v34 offset:768
	v_lshlrev_b64 v[1:2], 2, v[1:2]
	v_mov_b32_e32 v3, s31
	v_add_co_u32_e32 v1, vcc, s30, v1
	s_add_i32 s4, s8, 6
	v_addc_co_u32_e32 v2, vcc, v3, v2, vcc
	s_waitcnt lgkmcnt(0)
	global_store_dword v[1:2], v4, off
	v_mov_b32_e32 v1, s4
	s_or_b64 exec, exec, s[6:7]
	s_and_saveexec_b64 s[4:5], s[2:3]
	s_cbranch_execz .LBB18_96
.LBB18_103:
	v_add_u32_e32 v3, 6, v1
	v_add_u32_e32 v1, v1, v0
	v_mov_b32_e32 v2, 0
	ds_read_b32 v5, v34 offset:792
	v_lshlrev_b64 v[1:2], 2, v[1:2]
	v_mov_b32_e32 v4, s31
	v_add_co_u32_e32 v1, vcc, s30, v1
	v_addc_co_u32_e32 v2, vcc, v4, v2, vcc
	s_waitcnt lgkmcnt(0)
	global_store_dword v[1:2], v5, off
	v_mov_b32_e32 v1, v3
	s_or_b64 exec, exec, s[4:5]
	s_and_saveexec_b64 s[2:3], s[0:1]
	s_cbranch_execz .LBB18_97
.LBB18_104:
	v_add_u32_e32 v0, v1, v0
	v_mov_b32_e32 v1, 0
	ds_read_b32 v3, v34 offset:816
	v_lshlrev_b64 v[0:1], 2, v[0:1]
	v_mov_b32_e32 v2, s31
	v_add_co_u32_e32 v0, vcc, s30, v0
	v_addc_co_u32_e32 v1, vcc, v2, v1, vcc
	s_waitcnt lgkmcnt(0)
	global_store_dword v[0:1], v3, off
	s_endpgm
	.section	.rodata,"a",@progbits
	.p2align	6, 0x0
	.amdhsa_kernel _Z16histogram_kernelILj6ELj32ELj18ELN6hipcub23BlockHistogramAlgorithmE1EjEvPT3_S3_
		.amdhsa_group_segment_fixed_size 840
		.amdhsa_private_segment_fixed_size 0
		.amdhsa_kernarg_size 16
		.amdhsa_user_sgpr_count 6
		.amdhsa_user_sgpr_private_segment_buffer 1
		.amdhsa_user_sgpr_dispatch_ptr 0
		.amdhsa_user_sgpr_queue_ptr 0
		.amdhsa_user_sgpr_kernarg_segment_ptr 1
		.amdhsa_user_sgpr_dispatch_id 0
		.amdhsa_user_sgpr_flat_scratch_init 0
		.amdhsa_user_sgpr_private_segment_size 0
		.amdhsa_uses_dynamic_stack 0
		.amdhsa_system_sgpr_private_segment_wavefront_offset 0
		.amdhsa_system_sgpr_workgroup_id_x 1
		.amdhsa_system_sgpr_workgroup_id_y 0
		.amdhsa_system_sgpr_workgroup_id_z 0
		.amdhsa_system_sgpr_workgroup_info 0
		.amdhsa_system_vgpr_workitem_id 0
		.amdhsa_next_free_vgpr 122
		.amdhsa_next_free_sgpr 32
		.amdhsa_reserve_vcc 1
		.amdhsa_reserve_flat_scratch 0
		.amdhsa_float_round_mode_32 0
		.amdhsa_float_round_mode_16_64 0
		.amdhsa_float_denorm_mode_32 3
		.amdhsa_float_denorm_mode_16_64 3
		.amdhsa_dx10_clamp 1
		.amdhsa_ieee_mode 1
		.amdhsa_fp16_overflow 0
		.amdhsa_exception_fp_ieee_invalid_op 0
		.amdhsa_exception_fp_denorm_src 0
		.amdhsa_exception_fp_ieee_div_zero 0
		.amdhsa_exception_fp_ieee_overflow 0
		.amdhsa_exception_fp_ieee_underflow 0
		.amdhsa_exception_fp_ieee_inexact 0
		.amdhsa_exception_int_div_zero 0
	.end_amdhsa_kernel
	.section	.text._Z16histogram_kernelILj6ELj32ELj18ELN6hipcub23BlockHistogramAlgorithmE1EjEvPT3_S3_,"axG",@progbits,_Z16histogram_kernelILj6ELj32ELj18ELN6hipcub23BlockHistogramAlgorithmE1EjEvPT3_S3_,comdat
.Lfunc_end18:
	.size	_Z16histogram_kernelILj6ELj32ELj18ELN6hipcub23BlockHistogramAlgorithmE1EjEvPT3_S3_, .Lfunc_end18-_Z16histogram_kernelILj6ELj32ELj18ELN6hipcub23BlockHistogramAlgorithmE1EjEvPT3_S3_
                                        ; -- End function
	.set _Z16histogram_kernelILj6ELj32ELj18ELN6hipcub23BlockHistogramAlgorithmE1EjEvPT3_S3_.num_vgpr, 122
	.set _Z16histogram_kernelILj6ELj32ELj18ELN6hipcub23BlockHistogramAlgorithmE1EjEvPT3_S3_.num_agpr, 0
	.set _Z16histogram_kernelILj6ELj32ELj18ELN6hipcub23BlockHistogramAlgorithmE1EjEvPT3_S3_.numbered_sgpr, 32
	.set _Z16histogram_kernelILj6ELj32ELj18ELN6hipcub23BlockHistogramAlgorithmE1EjEvPT3_S3_.num_named_barrier, 0
	.set _Z16histogram_kernelILj6ELj32ELj18ELN6hipcub23BlockHistogramAlgorithmE1EjEvPT3_S3_.private_seg_size, 0
	.set _Z16histogram_kernelILj6ELj32ELj18ELN6hipcub23BlockHistogramAlgorithmE1EjEvPT3_S3_.uses_vcc, 1
	.set _Z16histogram_kernelILj6ELj32ELj18ELN6hipcub23BlockHistogramAlgorithmE1EjEvPT3_S3_.uses_flat_scratch, 0
	.set _Z16histogram_kernelILj6ELj32ELj18ELN6hipcub23BlockHistogramAlgorithmE1EjEvPT3_S3_.has_dyn_sized_stack, 0
	.set _Z16histogram_kernelILj6ELj32ELj18ELN6hipcub23BlockHistogramAlgorithmE1EjEvPT3_S3_.has_recursion, 0
	.set _Z16histogram_kernelILj6ELj32ELj18ELN6hipcub23BlockHistogramAlgorithmE1EjEvPT3_S3_.has_indirect_call, 0
	.section	.AMDGPU.csdata,"",@progbits
; Kernel info:
; codeLenInByte = 6276
; TotalNumSgprs: 36
; NumVgprs: 122
; ScratchSize: 0
; MemoryBound: 0
; FloatMode: 240
; IeeeMode: 1
; LDSByteSize: 840 bytes/workgroup (compile time only)
; SGPRBlocks: 4
; VGPRBlocks: 30
; NumSGPRsForWavesPerEU: 36
; NumVGPRsForWavesPerEU: 122
; Occupancy: 2
; WaveLimiterHint : 0
; COMPUTE_PGM_RSRC2:SCRATCH_EN: 0
; COMPUTE_PGM_RSRC2:USER_SGPR: 6
; COMPUTE_PGM_RSRC2:TRAP_HANDLER: 0
; COMPUTE_PGM_RSRC2:TGID_X_EN: 1
; COMPUTE_PGM_RSRC2:TGID_Y_EN: 0
; COMPUTE_PGM_RSRC2:TGID_Z_EN: 0
; COMPUTE_PGM_RSRC2:TIDIG_COMP_CNT: 0
	.section	.text._Z16histogram_kernelILj255ELj15ELj255ELN6hipcub23BlockHistogramAlgorithmE0EjEvPT3_S3_,"axG",@progbits,_Z16histogram_kernelILj255ELj15ELj255ELN6hipcub23BlockHistogramAlgorithmE0EjEvPT3_S3_,comdat
	.protected	_Z16histogram_kernelILj255ELj15ELj255ELN6hipcub23BlockHistogramAlgorithmE0EjEvPT3_S3_ ; -- Begin function _Z16histogram_kernelILj255ELj15ELj255ELN6hipcub23BlockHistogramAlgorithmE0EjEvPT3_S3_
	.globl	_Z16histogram_kernelILj255ELj15ELj255ELN6hipcub23BlockHistogramAlgorithmE0EjEvPT3_S3_
	.p2align	8
	.type	_Z16histogram_kernelILj255ELj15ELj255ELN6hipcub23BlockHistogramAlgorithmE0EjEvPT3_S3_,@function
_Z16histogram_kernelILj255ELj15ELj255ELN6hipcub23BlockHistogramAlgorithmE0EjEvPT3_S3_: ; @_Z16histogram_kernelILj255ELj15ELj255ELN6hipcub23BlockHistogramAlgorithmE0EjEvPT3_S3_
; %bb.0:
	s_mulk_i32 s6, 0xff
	v_add_u32_e32 v1, s6, v0
	v_mul_lo_u32 v3, v1, 15
	s_load_dwordx4 s[0:3], s[4:5], 0x0
	v_mov_b32_e32 v2, 0
	v_mov_b32_e32 v4, v2
	v_lshlrev_b64 v[4:5], 2, v[3:4]
	s_movk_i32 s4, 0xff
	s_waitcnt lgkmcnt(0)
	v_add_co_u32_e32 v4, vcc, s0, v4
	v_mov_b32_e32 v6, s1
	v_addc_co_u32_e32 v5, vcc, v6, v5, vcc
	global_load_dword v18, v[4:5], off
	v_add_u32_e32 v4, 1, v3
	v_mov_b32_e32 v5, v2
	v_lshlrev_b64 v[4:5], 2, v[4:5]
	v_mov_b32_e32 v19, s1
	v_add_co_u32_e32 v4, vcc, s0, v4
	v_addc_co_u32_e32 v5, vcc, v6, v5, vcc
	global_load_dword v17, v[4:5], off
	v_add_u32_e32 v4, 2, v3
	v_mov_b32_e32 v5, v2
	v_lshlrev_b64 v[4:5], 2, v[4:5]
	v_add_co_u32_e32 v4, vcc, s0, v4
	v_addc_co_u32_e32 v5, vcc, v6, v5, vcc
	global_load_dword v16, v[4:5], off
	v_add_u32_e32 v4, 3, v3
	v_mov_b32_e32 v5, v2
	v_lshlrev_b64 v[4:5], 2, v[4:5]
	;; [unrolled: 6-line block ×12, first 2 shown]
	v_add_u32_e32 v3, 14, v3
	v_add_co_u32_e32 v4, vcc, s0, v4
	v_addc_co_u32_e32 v5, vcc, v19, v5, vcc
	global_load_dword v5, v[4:5], off
	v_mov_b32_e32 v4, v2
	v_lshlrev_b64 v[3:4], 2, v[3:4]
	v_add_co_u32_e32 v3, vcc, s0, v3
	v_addc_co_u32_e32 v4, vcc, v19, v4, vcc
	global_load_dword v4, v[3:4], off
	v_cmp_gt_u32_e32 vcc, s4, v0
	v_lshlrev_b32_e32 v0, 2, v0
	s_and_saveexec_b64 s[0:1], vcc
; %bb.1:
	ds_write_b32 v0, v2
; %bb.2:
	s_or_b64 exec, exec, s[0:1]
	s_waitcnt vmcnt(14)
	v_and_b32_e32 v3, 1, v18
	v_add_co_u32_e64 v19, s[0:1], -1, v3
	v_addc_co_u32_e64 v20, s[0:1], 0, -1, s[0:1]
	v_cmp_ne_u32_e64 s[0:1], 0, v3
	v_xor_b32_e32 v3, s1, v20
	v_and_b32_e32 v20, exec_hi, v3
	v_lshlrev_b32_e32 v3, 30, v18
	v_xor_b32_e32 v19, s0, v19
	v_cmp_gt_i64_e64 s[0:1], 0, v[2:3]
	v_not_b32_e32 v3, v3
	v_ashrrev_i32_e32 v3, 31, v3
	v_and_b32_e32 v19, exec_lo, v19
	v_xor_b32_e32 v21, s1, v3
	v_xor_b32_e32 v3, s0, v3
	v_and_b32_e32 v19, v19, v3
	v_lshlrev_b32_e32 v3, 29, v18
	v_cmp_gt_i64_e64 s[0:1], 0, v[2:3]
	v_not_b32_e32 v3, v3
	v_ashrrev_i32_e32 v3, 31, v3
	v_and_b32_e32 v20, v20, v21
	v_xor_b32_e32 v21, s1, v3
	v_xor_b32_e32 v3, s0, v3
	v_and_b32_e32 v19, v19, v3
	v_lshlrev_b32_e32 v3, 28, v18
	v_cmp_gt_i64_e64 s[0:1], 0, v[2:3]
	v_not_b32_e32 v3, v3
	v_ashrrev_i32_e32 v3, 31, v3
	v_and_b32_e32 v20, v20, v21
	;; [unrolled: 8-line block ×6, first 2 shown]
	v_xor_b32_e32 v3, s1, v2
	v_xor_b32_e32 v21, s0, v2
	v_and_b32_e32 v2, v20, v3
	v_and_b32_e32 v3, v19, v21
	v_mbcnt_lo_u32_b32 v19, v3, 0
	v_mbcnt_hi_u32_b32 v19, v2, v19
	v_cmp_eq_u32_e64 s[0:1], 0, v19
	s_waitcnt vmcnt(0) lgkmcnt(0)
	s_barrier
	s_and_saveexec_b64 s[4:5], s[0:1]
; %bb.3:
	v_bcnt_u32_b32 v3, v3, 0
	v_lshlrev_b32_e32 v18, 2, v18
	v_bcnt_u32_b32 v2, v2, v3
	ds_add_u32 v18, v2
; %bb.4:
	s_or_b64 exec, exec, s[4:5]
	v_and_b32_e32 v3, 1, v17
	v_add_co_u32_e64 v18, s[0:1], -1, v3
	v_addc_co_u32_e64 v19, s[0:1], 0, -1, s[0:1]
	v_cmp_ne_u32_e64 s[0:1], 0, v3
	v_xor_b32_e32 v3, s1, v19
	v_mov_b32_e32 v2, 0
	v_and_b32_e32 v19, exec_hi, v3
	v_lshlrev_b32_e32 v3, 30, v17
	v_xor_b32_e32 v18, s0, v18
	v_cmp_gt_i64_e64 s[0:1], 0, v[2:3]
	v_not_b32_e32 v3, v3
	v_ashrrev_i32_e32 v3, 31, v3
	v_and_b32_e32 v18, exec_lo, v18
	v_xor_b32_e32 v20, s1, v3
	v_xor_b32_e32 v3, s0, v3
	v_and_b32_e32 v18, v18, v3
	v_lshlrev_b32_e32 v3, 29, v17
	v_cmp_gt_i64_e64 s[0:1], 0, v[2:3]
	v_not_b32_e32 v3, v3
	v_ashrrev_i32_e32 v3, 31, v3
	v_and_b32_e32 v19, v19, v20
	v_xor_b32_e32 v20, s1, v3
	v_xor_b32_e32 v3, s0, v3
	v_and_b32_e32 v18, v18, v3
	v_lshlrev_b32_e32 v3, 28, v17
	v_cmp_gt_i64_e64 s[0:1], 0, v[2:3]
	v_not_b32_e32 v3, v3
	v_ashrrev_i32_e32 v3, 31, v3
	v_and_b32_e32 v19, v19, v20
	;; [unrolled: 8-line block ×5, first 2 shown]
	v_xor_b32_e32 v20, s1, v3
	v_xor_b32_e32 v3, s0, v3
	v_and_b32_e32 v18, v18, v3
	v_lshlrev_b32_e32 v3, 24, v17
	v_cmp_gt_i64_e64 s[0:1], 0, v[2:3]
	v_not_b32_e32 v3, v3
	v_ashrrev_i32_e32 v3, 31, v3
	v_xor_b32_e32 v21, s0, v3
	v_and_b32_e32 v19, v19, v20
	v_xor_b32_e32 v20, s1, v3
	v_and_b32_e32 v18, v18, v21
	v_and_b32_e32 v3, v19, v20
	v_mbcnt_lo_u32_b32 v19, v18, 0
	v_mbcnt_hi_u32_b32 v19, v3, v19
	v_cmp_eq_u32_e64 s[0:1], 0, v19
	s_and_saveexec_b64 s[4:5], s[0:1]
; %bb.5:
	v_bcnt_u32_b32 v18, v18, 0
	v_lshlrev_b32_e32 v17, 2, v17
	v_bcnt_u32_b32 v3, v3, v18
	ds_add_u32 v17, v3
; %bb.6:
	s_or_b64 exec, exec, s[4:5]
	v_and_b32_e32 v3, 1, v16
	v_add_co_u32_e64 v17, s[0:1], -1, v3
	v_addc_co_u32_e64 v18, s[0:1], 0, -1, s[0:1]
	v_cmp_ne_u32_e64 s[0:1], 0, v3
	v_xor_b32_e32 v3, s1, v18
	v_and_b32_e32 v18, exec_hi, v3
	v_lshlrev_b32_e32 v3, 30, v16
	v_xor_b32_e32 v17, s0, v17
	v_cmp_gt_i64_e64 s[0:1], 0, v[2:3]
	v_not_b32_e32 v3, v3
	v_ashrrev_i32_e32 v3, 31, v3
	v_and_b32_e32 v17, exec_lo, v17
	v_xor_b32_e32 v19, s1, v3
	v_xor_b32_e32 v3, s0, v3
	v_and_b32_e32 v17, v17, v3
	v_lshlrev_b32_e32 v3, 29, v16
	v_cmp_gt_i64_e64 s[0:1], 0, v[2:3]
	v_not_b32_e32 v3, v3
	v_ashrrev_i32_e32 v3, 31, v3
	v_and_b32_e32 v18, v18, v19
	v_xor_b32_e32 v19, s1, v3
	v_xor_b32_e32 v3, s0, v3
	v_and_b32_e32 v17, v17, v3
	v_lshlrev_b32_e32 v3, 28, v16
	v_cmp_gt_i64_e64 s[0:1], 0, v[2:3]
	v_not_b32_e32 v3, v3
	v_ashrrev_i32_e32 v3, 31, v3
	v_and_b32_e32 v18, v18, v19
	;; [unrolled: 8-line block ×6, first 2 shown]
	v_xor_b32_e32 v3, s1, v2
	v_xor_b32_e32 v19, s0, v2
	v_and_b32_e32 v2, v18, v3
	v_and_b32_e32 v3, v17, v19
	v_mbcnt_lo_u32_b32 v17, v3, 0
	v_mbcnt_hi_u32_b32 v17, v2, v17
	v_cmp_eq_u32_e64 s[0:1], 0, v17
	s_and_saveexec_b64 s[4:5], s[0:1]
; %bb.7:
	v_bcnt_u32_b32 v3, v3, 0
	v_lshlrev_b32_e32 v16, 2, v16
	v_bcnt_u32_b32 v2, v2, v3
	ds_add_u32 v16, v2
; %bb.8:
	s_or_b64 exec, exec, s[4:5]
	v_and_b32_e32 v3, 1, v15
	v_add_co_u32_e64 v16, s[0:1], -1, v3
	v_addc_co_u32_e64 v17, s[0:1], 0, -1, s[0:1]
	v_cmp_ne_u32_e64 s[0:1], 0, v3
	v_xor_b32_e32 v3, s1, v17
	v_mov_b32_e32 v2, 0
	v_and_b32_e32 v17, exec_hi, v3
	v_lshlrev_b32_e32 v3, 30, v15
	v_xor_b32_e32 v16, s0, v16
	v_cmp_gt_i64_e64 s[0:1], 0, v[2:3]
	v_not_b32_e32 v3, v3
	v_ashrrev_i32_e32 v3, 31, v3
	v_and_b32_e32 v16, exec_lo, v16
	v_xor_b32_e32 v18, s1, v3
	v_xor_b32_e32 v3, s0, v3
	v_and_b32_e32 v16, v16, v3
	v_lshlrev_b32_e32 v3, 29, v15
	v_cmp_gt_i64_e64 s[0:1], 0, v[2:3]
	v_not_b32_e32 v3, v3
	v_ashrrev_i32_e32 v3, 31, v3
	v_and_b32_e32 v17, v17, v18
	v_xor_b32_e32 v18, s1, v3
	v_xor_b32_e32 v3, s0, v3
	v_and_b32_e32 v16, v16, v3
	v_lshlrev_b32_e32 v3, 28, v15
	v_cmp_gt_i64_e64 s[0:1], 0, v[2:3]
	v_not_b32_e32 v3, v3
	v_ashrrev_i32_e32 v3, 31, v3
	v_and_b32_e32 v17, v17, v18
	;; [unrolled: 8-line block ×5, first 2 shown]
	v_xor_b32_e32 v18, s1, v3
	v_xor_b32_e32 v3, s0, v3
	v_and_b32_e32 v16, v16, v3
	v_lshlrev_b32_e32 v3, 24, v15
	v_cmp_gt_i64_e64 s[0:1], 0, v[2:3]
	v_not_b32_e32 v3, v3
	v_ashrrev_i32_e32 v3, 31, v3
	v_xor_b32_e32 v19, s0, v3
	v_and_b32_e32 v17, v17, v18
	v_xor_b32_e32 v18, s1, v3
	v_and_b32_e32 v16, v16, v19
	v_and_b32_e32 v3, v17, v18
	v_mbcnt_lo_u32_b32 v17, v16, 0
	v_mbcnt_hi_u32_b32 v17, v3, v17
	v_cmp_eq_u32_e64 s[0:1], 0, v17
	s_and_saveexec_b64 s[4:5], s[0:1]
; %bb.9:
	v_bcnt_u32_b32 v16, v16, 0
	v_lshlrev_b32_e32 v15, 2, v15
	v_bcnt_u32_b32 v3, v3, v16
	ds_add_u32 v15, v3
; %bb.10:
	s_or_b64 exec, exec, s[4:5]
	v_and_b32_e32 v3, 1, v14
	v_add_co_u32_e64 v15, s[0:1], -1, v3
	v_addc_co_u32_e64 v16, s[0:1], 0, -1, s[0:1]
	v_cmp_ne_u32_e64 s[0:1], 0, v3
	v_xor_b32_e32 v3, s1, v16
	v_and_b32_e32 v16, exec_hi, v3
	v_lshlrev_b32_e32 v3, 30, v14
	v_xor_b32_e32 v15, s0, v15
	v_cmp_gt_i64_e64 s[0:1], 0, v[2:3]
	v_not_b32_e32 v3, v3
	v_ashrrev_i32_e32 v3, 31, v3
	v_and_b32_e32 v15, exec_lo, v15
	v_xor_b32_e32 v17, s1, v3
	v_xor_b32_e32 v3, s0, v3
	v_and_b32_e32 v15, v15, v3
	v_lshlrev_b32_e32 v3, 29, v14
	v_cmp_gt_i64_e64 s[0:1], 0, v[2:3]
	v_not_b32_e32 v3, v3
	v_ashrrev_i32_e32 v3, 31, v3
	v_and_b32_e32 v16, v16, v17
	v_xor_b32_e32 v17, s1, v3
	v_xor_b32_e32 v3, s0, v3
	v_and_b32_e32 v15, v15, v3
	v_lshlrev_b32_e32 v3, 28, v14
	v_cmp_gt_i64_e64 s[0:1], 0, v[2:3]
	v_not_b32_e32 v3, v3
	v_ashrrev_i32_e32 v3, 31, v3
	v_and_b32_e32 v16, v16, v17
	;; [unrolled: 8-line block ×6, first 2 shown]
	v_xor_b32_e32 v3, s1, v2
	v_xor_b32_e32 v17, s0, v2
	v_and_b32_e32 v2, v16, v3
	v_and_b32_e32 v3, v15, v17
	v_mbcnt_lo_u32_b32 v15, v3, 0
	v_mbcnt_hi_u32_b32 v15, v2, v15
	v_cmp_eq_u32_e64 s[0:1], 0, v15
	s_and_saveexec_b64 s[4:5], s[0:1]
; %bb.11:
	v_bcnt_u32_b32 v3, v3, 0
	v_lshlrev_b32_e32 v14, 2, v14
	v_bcnt_u32_b32 v2, v2, v3
	ds_add_u32 v14, v2
; %bb.12:
	s_or_b64 exec, exec, s[4:5]
	v_and_b32_e32 v3, 1, v13
	v_add_co_u32_e64 v14, s[0:1], -1, v3
	v_addc_co_u32_e64 v15, s[0:1], 0, -1, s[0:1]
	v_cmp_ne_u32_e64 s[0:1], 0, v3
	v_xor_b32_e32 v3, s1, v15
	v_mov_b32_e32 v2, 0
	v_and_b32_e32 v15, exec_hi, v3
	v_lshlrev_b32_e32 v3, 30, v13
	v_xor_b32_e32 v14, s0, v14
	v_cmp_gt_i64_e64 s[0:1], 0, v[2:3]
	v_not_b32_e32 v3, v3
	v_ashrrev_i32_e32 v3, 31, v3
	v_and_b32_e32 v14, exec_lo, v14
	v_xor_b32_e32 v16, s1, v3
	v_xor_b32_e32 v3, s0, v3
	v_and_b32_e32 v14, v14, v3
	v_lshlrev_b32_e32 v3, 29, v13
	v_cmp_gt_i64_e64 s[0:1], 0, v[2:3]
	v_not_b32_e32 v3, v3
	v_ashrrev_i32_e32 v3, 31, v3
	v_and_b32_e32 v15, v15, v16
	v_xor_b32_e32 v16, s1, v3
	v_xor_b32_e32 v3, s0, v3
	v_and_b32_e32 v14, v14, v3
	v_lshlrev_b32_e32 v3, 28, v13
	v_cmp_gt_i64_e64 s[0:1], 0, v[2:3]
	v_not_b32_e32 v3, v3
	v_ashrrev_i32_e32 v3, 31, v3
	v_and_b32_e32 v15, v15, v16
	;; [unrolled: 8-line block ×5, first 2 shown]
	v_xor_b32_e32 v16, s1, v3
	v_xor_b32_e32 v3, s0, v3
	v_and_b32_e32 v14, v14, v3
	v_lshlrev_b32_e32 v3, 24, v13
	v_cmp_gt_i64_e64 s[0:1], 0, v[2:3]
	v_not_b32_e32 v3, v3
	v_ashrrev_i32_e32 v3, 31, v3
	v_xor_b32_e32 v17, s0, v3
	v_and_b32_e32 v15, v15, v16
	v_xor_b32_e32 v16, s1, v3
	v_and_b32_e32 v14, v14, v17
	v_and_b32_e32 v3, v15, v16
	v_mbcnt_lo_u32_b32 v15, v14, 0
	v_mbcnt_hi_u32_b32 v15, v3, v15
	v_cmp_eq_u32_e64 s[0:1], 0, v15
	s_and_saveexec_b64 s[4:5], s[0:1]
; %bb.13:
	v_bcnt_u32_b32 v14, v14, 0
	v_lshlrev_b32_e32 v13, 2, v13
	v_bcnt_u32_b32 v3, v3, v14
	ds_add_u32 v13, v3
; %bb.14:
	s_or_b64 exec, exec, s[4:5]
	v_and_b32_e32 v3, 1, v12
	v_add_co_u32_e64 v13, s[0:1], -1, v3
	v_addc_co_u32_e64 v14, s[0:1], 0, -1, s[0:1]
	v_cmp_ne_u32_e64 s[0:1], 0, v3
	v_xor_b32_e32 v3, s1, v14
	v_and_b32_e32 v14, exec_hi, v3
	v_lshlrev_b32_e32 v3, 30, v12
	v_xor_b32_e32 v13, s0, v13
	v_cmp_gt_i64_e64 s[0:1], 0, v[2:3]
	v_not_b32_e32 v3, v3
	v_ashrrev_i32_e32 v3, 31, v3
	v_and_b32_e32 v13, exec_lo, v13
	v_xor_b32_e32 v15, s1, v3
	v_xor_b32_e32 v3, s0, v3
	v_and_b32_e32 v13, v13, v3
	v_lshlrev_b32_e32 v3, 29, v12
	v_cmp_gt_i64_e64 s[0:1], 0, v[2:3]
	v_not_b32_e32 v3, v3
	v_ashrrev_i32_e32 v3, 31, v3
	v_and_b32_e32 v14, v14, v15
	v_xor_b32_e32 v15, s1, v3
	v_xor_b32_e32 v3, s0, v3
	v_and_b32_e32 v13, v13, v3
	v_lshlrev_b32_e32 v3, 28, v12
	v_cmp_gt_i64_e64 s[0:1], 0, v[2:3]
	v_not_b32_e32 v3, v3
	v_ashrrev_i32_e32 v3, 31, v3
	v_and_b32_e32 v14, v14, v15
	;; [unrolled: 8-line block ×6, first 2 shown]
	v_xor_b32_e32 v3, s1, v2
	v_xor_b32_e32 v15, s0, v2
	v_and_b32_e32 v2, v14, v3
	v_and_b32_e32 v3, v13, v15
	v_mbcnt_lo_u32_b32 v13, v3, 0
	v_mbcnt_hi_u32_b32 v13, v2, v13
	v_cmp_eq_u32_e64 s[0:1], 0, v13
	s_and_saveexec_b64 s[4:5], s[0:1]
; %bb.15:
	v_bcnt_u32_b32 v3, v3, 0
	v_lshlrev_b32_e32 v12, 2, v12
	v_bcnt_u32_b32 v2, v2, v3
	ds_add_u32 v12, v2
; %bb.16:
	s_or_b64 exec, exec, s[4:5]
	v_and_b32_e32 v3, 1, v11
	v_add_co_u32_e64 v12, s[0:1], -1, v3
	v_addc_co_u32_e64 v13, s[0:1], 0, -1, s[0:1]
	v_cmp_ne_u32_e64 s[0:1], 0, v3
	v_xor_b32_e32 v3, s1, v13
	v_mov_b32_e32 v2, 0
	v_and_b32_e32 v13, exec_hi, v3
	v_lshlrev_b32_e32 v3, 30, v11
	v_xor_b32_e32 v12, s0, v12
	v_cmp_gt_i64_e64 s[0:1], 0, v[2:3]
	v_not_b32_e32 v3, v3
	v_ashrrev_i32_e32 v3, 31, v3
	v_and_b32_e32 v12, exec_lo, v12
	v_xor_b32_e32 v14, s1, v3
	v_xor_b32_e32 v3, s0, v3
	v_and_b32_e32 v12, v12, v3
	v_lshlrev_b32_e32 v3, 29, v11
	v_cmp_gt_i64_e64 s[0:1], 0, v[2:3]
	v_not_b32_e32 v3, v3
	v_ashrrev_i32_e32 v3, 31, v3
	v_and_b32_e32 v13, v13, v14
	v_xor_b32_e32 v14, s1, v3
	v_xor_b32_e32 v3, s0, v3
	v_and_b32_e32 v12, v12, v3
	v_lshlrev_b32_e32 v3, 28, v11
	v_cmp_gt_i64_e64 s[0:1], 0, v[2:3]
	v_not_b32_e32 v3, v3
	v_ashrrev_i32_e32 v3, 31, v3
	v_and_b32_e32 v13, v13, v14
	;; [unrolled: 8-line block ×5, first 2 shown]
	v_xor_b32_e32 v14, s1, v3
	v_xor_b32_e32 v3, s0, v3
	v_and_b32_e32 v12, v12, v3
	v_lshlrev_b32_e32 v3, 24, v11
	v_cmp_gt_i64_e64 s[0:1], 0, v[2:3]
	v_not_b32_e32 v3, v3
	v_ashrrev_i32_e32 v3, 31, v3
	v_xor_b32_e32 v15, s0, v3
	v_and_b32_e32 v13, v13, v14
	v_xor_b32_e32 v14, s1, v3
	v_and_b32_e32 v12, v12, v15
	v_and_b32_e32 v3, v13, v14
	v_mbcnt_lo_u32_b32 v13, v12, 0
	v_mbcnt_hi_u32_b32 v13, v3, v13
	v_cmp_eq_u32_e64 s[0:1], 0, v13
	s_and_saveexec_b64 s[4:5], s[0:1]
; %bb.17:
	v_bcnt_u32_b32 v12, v12, 0
	v_lshlrev_b32_e32 v11, 2, v11
	v_bcnt_u32_b32 v3, v3, v12
	ds_add_u32 v11, v3
; %bb.18:
	s_or_b64 exec, exec, s[4:5]
	v_and_b32_e32 v3, 1, v10
	v_add_co_u32_e64 v11, s[0:1], -1, v3
	v_addc_co_u32_e64 v12, s[0:1], 0, -1, s[0:1]
	v_cmp_ne_u32_e64 s[0:1], 0, v3
	v_xor_b32_e32 v3, s1, v12
	v_and_b32_e32 v12, exec_hi, v3
	v_lshlrev_b32_e32 v3, 30, v10
	v_xor_b32_e32 v11, s0, v11
	v_cmp_gt_i64_e64 s[0:1], 0, v[2:3]
	v_not_b32_e32 v3, v3
	v_ashrrev_i32_e32 v3, 31, v3
	v_and_b32_e32 v11, exec_lo, v11
	v_xor_b32_e32 v13, s1, v3
	v_xor_b32_e32 v3, s0, v3
	v_and_b32_e32 v11, v11, v3
	v_lshlrev_b32_e32 v3, 29, v10
	v_cmp_gt_i64_e64 s[0:1], 0, v[2:3]
	v_not_b32_e32 v3, v3
	v_ashrrev_i32_e32 v3, 31, v3
	v_and_b32_e32 v12, v12, v13
	v_xor_b32_e32 v13, s1, v3
	v_xor_b32_e32 v3, s0, v3
	v_and_b32_e32 v11, v11, v3
	v_lshlrev_b32_e32 v3, 28, v10
	v_cmp_gt_i64_e64 s[0:1], 0, v[2:3]
	v_not_b32_e32 v3, v3
	v_ashrrev_i32_e32 v3, 31, v3
	v_and_b32_e32 v12, v12, v13
	;; [unrolled: 8-line block ×6, first 2 shown]
	v_xor_b32_e32 v3, s1, v2
	v_xor_b32_e32 v13, s0, v2
	v_and_b32_e32 v2, v12, v3
	v_and_b32_e32 v3, v11, v13
	v_mbcnt_lo_u32_b32 v11, v3, 0
	v_mbcnt_hi_u32_b32 v11, v2, v11
	v_cmp_eq_u32_e64 s[0:1], 0, v11
	s_and_saveexec_b64 s[4:5], s[0:1]
; %bb.19:
	v_bcnt_u32_b32 v3, v3, 0
	v_lshlrev_b32_e32 v10, 2, v10
	v_bcnt_u32_b32 v2, v2, v3
	ds_add_u32 v10, v2
; %bb.20:
	s_or_b64 exec, exec, s[4:5]
	v_and_b32_e32 v3, 1, v9
	v_add_co_u32_e64 v10, s[0:1], -1, v3
	v_addc_co_u32_e64 v11, s[0:1], 0, -1, s[0:1]
	v_cmp_ne_u32_e64 s[0:1], 0, v3
	v_xor_b32_e32 v3, s1, v11
	v_mov_b32_e32 v2, 0
	v_and_b32_e32 v11, exec_hi, v3
	v_lshlrev_b32_e32 v3, 30, v9
	v_xor_b32_e32 v10, s0, v10
	v_cmp_gt_i64_e64 s[0:1], 0, v[2:3]
	v_not_b32_e32 v3, v3
	v_ashrrev_i32_e32 v3, 31, v3
	v_and_b32_e32 v10, exec_lo, v10
	v_xor_b32_e32 v12, s1, v3
	v_xor_b32_e32 v3, s0, v3
	v_and_b32_e32 v10, v10, v3
	v_lshlrev_b32_e32 v3, 29, v9
	v_cmp_gt_i64_e64 s[0:1], 0, v[2:3]
	v_not_b32_e32 v3, v3
	v_ashrrev_i32_e32 v3, 31, v3
	v_and_b32_e32 v11, v11, v12
	v_xor_b32_e32 v12, s1, v3
	v_xor_b32_e32 v3, s0, v3
	v_and_b32_e32 v10, v10, v3
	v_lshlrev_b32_e32 v3, 28, v9
	v_cmp_gt_i64_e64 s[0:1], 0, v[2:3]
	v_not_b32_e32 v3, v3
	v_ashrrev_i32_e32 v3, 31, v3
	v_and_b32_e32 v11, v11, v12
	;; [unrolled: 8-line block ×5, first 2 shown]
	v_xor_b32_e32 v12, s1, v3
	v_xor_b32_e32 v3, s0, v3
	v_and_b32_e32 v10, v10, v3
	v_lshlrev_b32_e32 v3, 24, v9
	v_cmp_gt_i64_e64 s[0:1], 0, v[2:3]
	v_not_b32_e32 v3, v3
	v_ashrrev_i32_e32 v3, 31, v3
	v_xor_b32_e32 v13, s0, v3
	v_and_b32_e32 v11, v11, v12
	v_xor_b32_e32 v12, s1, v3
	v_and_b32_e32 v10, v10, v13
	v_and_b32_e32 v3, v11, v12
	v_mbcnt_lo_u32_b32 v11, v10, 0
	v_mbcnt_hi_u32_b32 v11, v3, v11
	v_cmp_eq_u32_e64 s[0:1], 0, v11
	s_and_saveexec_b64 s[4:5], s[0:1]
; %bb.21:
	v_bcnt_u32_b32 v10, v10, 0
	v_lshlrev_b32_e32 v9, 2, v9
	v_bcnt_u32_b32 v3, v3, v10
	ds_add_u32 v9, v3
; %bb.22:
	s_or_b64 exec, exec, s[4:5]
	v_and_b32_e32 v3, 1, v8
	v_add_co_u32_e64 v9, s[0:1], -1, v3
	v_addc_co_u32_e64 v10, s[0:1], 0, -1, s[0:1]
	v_cmp_ne_u32_e64 s[0:1], 0, v3
	v_xor_b32_e32 v3, s1, v10
	v_and_b32_e32 v10, exec_hi, v3
	v_lshlrev_b32_e32 v3, 30, v8
	v_xor_b32_e32 v9, s0, v9
	v_cmp_gt_i64_e64 s[0:1], 0, v[2:3]
	v_not_b32_e32 v3, v3
	v_ashrrev_i32_e32 v3, 31, v3
	v_and_b32_e32 v9, exec_lo, v9
	v_xor_b32_e32 v11, s1, v3
	v_xor_b32_e32 v3, s0, v3
	v_and_b32_e32 v9, v9, v3
	v_lshlrev_b32_e32 v3, 29, v8
	v_cmp_gt_i64_e64 s[0:1], 0, v[2:3]
	v_not_b32_e32 v3, v3
	v_ashrrev_i32_e32 v3, 31, v3
	v_and_b32_e32 v10, v10, v11
	v_xor_b32_e32 v11, s1, v3
	v_xor_b32_e32 v3, s0, v3
	v_and_b32_e32 v9, v9, v3
	v_lshlrev_b32_e32 v3, 28, v8
	v_cmp_gt_i64_e64 s[0:1], 0, v[2:3]
	v_not_b32_e32 v3, v3
	v_ashrrev_i32_e32 v3, 31, v3
	v_and_b32_e32 v10, v10, v11
	;; [unrolled: 8-line block ×6, first 2 shown]
	v_xor_b32_e32 v3, s1, v2
	v_xor_b32_e32 v11, s0, v2
	v_and_b32_e32 v2, v10, v3
	v_and_b32_e32 v3, v9, v11
	v_mbcnt_lo_u32_b32 v9, v3, 0
	v_mbcnt_hi_u32_b32 v9, v2, v9
	v_cmp_eq_u32_e64 s[0:1], 0, v9
	s_and_saveexec_b64 s[4:5], s[0:1]
; %bb.23:
	v_bcnt_u32_b32 v3, v3, 0
	v_lshlrev_b32_e32 v8, 2, v8
	v_bcnt_u32_b32 v2, v2, v3
	ds_add_u32 v8, v2
; %bb.24:
	s_or_b64 exec, exec, s[4:5]
	v_and_b32_e32 v3, 1, v7
	v_add_co_u32_e64 v8, s[0:1], -1, v3
	v_addc_co_u32_e64 v9, s[0:1], 0, -1, s[0:1]
	v_cmp_ne_u32_e64 s[0:1], 0, v3
	v_xor_b32_e32 v3, s1, v9
	v_mov_b32_e32 v2, 0
	v_and_b32_e32 v9, exec_hi, v3
	v_lshlrev_b32_e32 v3, 30, v7
	v_xor_b32_e32 v8, s0, v8
	v_cmp_gt_i64_e64 s[0:1], 0, v[2:3]
	v_not_b32_e32 v3, v3
	v_ashrrev_i32_e32 v3, 31, v3
	v_and_b32_e32 v8, exec_lo, v8
	v_xor_b32_e32 v10, s1, v3
	v_xor_b32_e32 v3, s0, v3
	v_and_b32_e32 v8, v8, v3
	v_lshlrev_b32_e32 v3, 29, v7
	v_cmp_gt_i64_e64 s[0:1], 0, v[2:3]
	v_not_b32_e32 v3, v3
	v_ashrrev_i32_e32 v3, 31, v3
	v_and_b32_e32 v9, v9, v10
	v_xor_b32_e32 v10, s1, v3
	v_xor_b32_e32 v3, s0, v3
	v_and_b32_e32 v8, v8, v3
	v_lshlrev_b32_e32 v3, 28, v7
	v_cmp_gt_i64_e64 s[0:1], 0, v[2:3]
	v_not_b32_e32 v3, v3
	v_ashrrev_i32_e32 v3, 31, v3
	v_and_b32_e32 v9, v9, v10
	;; [unrolled: 8-line block ×5, first 2 shown]
	v_xor_b32_e32 v10, s1, v3
	v_xor_b32_e32 v3, s0, v3
	v_and_b32_e32 v8, v8, v3
	v_lshlrev_b32_e32 v3, 24, v7
	v_cmp_gt_i64_e64 s[0:1], 0, v[2:3]
	v_not_b32_e32 v3, v3
	v_ashrrev_i32_e32 v3, 31, v3
	v_xor_b32_e32 v11, s0, v3
	v_and_b32_e32 v9, v9, v10
	v_xor_b32_e32 v10, s1, v3
	v_and_b32_e32 v8, v8, v11
	v_and_b32_e32 v3, v9, v10
	v_mbcnt_lo_u32_b32 v9, v8, 0
	v_mbcnt_hi_u32_b32 v9, v3, v9
	v_cmp_eq_u32_e64 s[0:1], 0, v9
	s_and_saveexec_b64 s[4:5], s[0:1]
; %bb.25:
	v_bcnt_u32_b32 v8, v8, 0
	v_lshlrev_b32_e32 v7, 2, v7
	v_bcnt_u32_b32 v3, v3, v8
	ds_add_u32 v7, v3
; %bb.26:
	s_or_b64 exec, exec, s[4:5]
	v_and_b32_e32 v3, 1, v6
	v_add_co_u32_e64 v7, s[0:1], -1, v3
	v_addc_co_u32_e64 v8, s[0:1], 0, -1, s[0:1]
	v_cmp_ne_u32_e64 s[0:1], 0, v3
	v_xor_b32_e32 v3, s1, v8
	v_and_b32_e32 v8, exec_hi, v3
	v_lshlrev_b32_e32 v3, 30, v6
	v_xor_b32_e32 v7, s0, v7
	v_cmp_gt_i64_e64 s[0:1], 0, v[2:3]
	v_not_b32_e32 v3, v3
	v_ashrrev_i32_e32 v3, 31, v3
	v_and_b32_e32 v7, exec_lo, v7
	v_xor_b32_e32 v9, s1, v3
	v_xor_b32_e32 v3, s0, v3
	v_and_b32_e32 v7, v7, v3
	v_lshlrev_b32_e32 v3, 29, v6
	v_cmp_gt_i64_e64 s[0:1], 0, v[2:3]
	v_not_b32_e32 v3, v3
	v_ashrrev_i32_e32 v3, 31, v3
	v_and_b32_e32 v8, v8, v9
	v_xor_b32_e32 v9, s1, v3
	v_xor_b32_e32 v3, s0, v3
	v_and_b32_e32 v7, v7, v3
	v_lshlrev_b32_e32 v3, 28, v6
	v_cmp_gt_i64_e64 s[0:1], 0, v[2:3]
	v_not_b32_e32 v3, v3
	v_ashrrev_i32_e32 v3, 31, v3
	v_and_b32_e32 v8, v8, v9
	;; [unrolled: 8-line block ×6, first 2 shown]
	v_xor_b32_e32 v3, s1, v2
	v_xor_b32_e32 v9, s0, v2
	v_and_b32_e32 v2, v8, v3
	v_and_b32_e32 v3, v7, v9
	v_mbcnt_lo_u32_b32 v7, v3, 0
	v_mbcnt_hi_u32_b32 v7, v2, v7
	v_cmp_eq_u32_e64 s[0:1], 0, v7
	s_and_saveexec_b64 s[4:5], s[0:1]
; %bb.27:
	v_bcnt_u32_b32 v3, v3, 0
	v_lshlrev_b32_e32 v6, 2, v6
	v_bcnt_u32_b32 v2, v2, v3
	ds_add_u32 v6, v2
; %bb.28:
	s_or_b64 exec, exec, s[4:5]
	v_and_b32_e32 v3, 1, v5
	v_add_co_u32_e64 v6, s[0:1], -1, v3
	v_addc_co_u32_e64 v7, s[0:1], 0, -1, s[0:1]
	v_cmp_ne_u32_e64 s[0:1], 0, v3
	v_xor_b32_e32 v3, s1, v7
	v_mov_b32_e32 v2, 0
	v_and_b32_e32 v7, exec_hi, v3
	v_lshlrev_b32_e32 v3, 30, v5
	v_xor_b32_e32 v6, s0, v6
	v_cmp_gt_i64_e64 s[0:1], 0, v[2:3]
	v_not_b32_e32 v3, v3
	v_ashrrev_i32_e32 v3, 31, v3
	v_and_b32_e32 v6, exec_lo, v6
	v_xor_b32_e32 v8, s1, v3
	v_xor_b32_e32 v3, s0, v3
	v_and_b32_e32 v6, v6, v3
	v_lshlrev_b32_e32 v3, 29, v5
	v_cmp_gt_i64_e64 s[0:1], 0, v[2:3]
	v_not_b32_e32 v3, v3
	v_ashrrev_i32_e32 v3, 31, v3
	v_and_b32_e32 v7, v7, v8
	v_xor_b32_e32 v8, s1, v3
	v_xor_b32_e32 v3, s0, v3
	v_and_b32_e32 v6, v6, v3
	v_lshlrev_b32_e32 v3, 28, v5
	v_cmp_gt_i64_e64 s[0:1], 0, v[2:3]
	v_not_b32_e32 v3, v3
	v_ashrrev_i32_e32 v3, 31, v3
	v_and_b32_e32 v7, v7, v8
	;; [unrolled: 8-line block ×5, first 2 shown]
	v_xor_b32_e32 v8, s1, v3
	v_xor_b32_e32 v3, s0, v3
	v_and_b32_e32 v6, v6, v3
	v_lshlrev_b32_e32 v3, 24, v5
	v_cmp_gt_i64_e64 s[0:1], 0, v[2:3]
	v_not_b32_e32 v3, v3
	v_ashrrev_i32_e32 v3, 31, v3
	v_xor_b32_e32 v9, s0, v3
	v_and_b32_e32 v7, v7, v8
	v_xor_b32_e32 v8, s1, v3
	v_and_b32_e32 v6, v6, v9
	v_and_b32_e32 v3, v7, v8
	v_mbcnt_lo_u32_b32 v7, v6, 0
	v_mbcnt_hi_u32_b32 v7, v3, v7
	v_cmp_eq_u32_e64 s[0:1], 0, v7
	s_and_saveexec_b64 s[4:5], s[0:1]
; %bb.29:
	v_bcnt_u32_b32 v6, v6, 0
	v_lshlrev_b32_e32 v5, 2, v5
	v_bcnt_u32_b32 v3, v3, v6
	ds_add_u32 v5, v3
; %bb.30:
	s_or_b64 exec, exec, s[4:5]
	v_and_b32_e32 v3, 1, v4
	v_add_co_u32_e64 v5, s[0:1], -1, v3
	v_addc_co_u32_e64 v6, s[0:1], 0, -1, s[0:1]
	v_cmp_ne_u32_e64 s[0:1], 0, v3
	v_xor_b32_e32 v3, s1, v6
	v_and_b32_e32 v6, exec_hi, v3
	v_lshlrev_b32_e32 v3, 30, v4
	v_xor_b32_e32 v5, s0, v5
	v_cmp_gt_i64_e64 s[0:1], 0, v[2:3]
	v_not_b32_e32 v3, v3
	v_ashrrev_i32_e32 v3, 31, v3
	v_and_b32_e32 v5, exec_lo, v5
	v_xor_b32_e32 v7, s1, v3
	v_xor_b32_e32 v3, s0, v3
	v_and_b32_e32 v5, v5, v3
	v_lshlrev_b32_e32 v3, 29, v4
	v_cmp_gt_i64_e64 s[0:1], 0, v[2:3]
	v_not_b32_e32 v3, v3
	v_ashrrev_i32_e32 v3, 31, v3
	v_and_b32_e32 v6, v6, v7
	v_xor_b32_e32 v7, s1, v3
	v_xor_b32_e32 v3, s0, v3
	v_and_b32_e32 v5, v5, v3
	v_lshlrev_b32_e32 v3, 28, v4
	v_cmp_gt_i64_e64 s[0:1], 0, v[2:3]
	v_not_b32_e32 v3, v3
	v_ashrrev_i32_e32 v3, 31, v3
	v_and_b32_e32 v6, v6, v7
	;; [unrolled: 8-line block ×6, first 2 shown]
	v_xor_b32_e32 v3, s1, v2
	v_xor_b32_e32 v7, s0, v2
	v_and_b32_e32 v2, v6, v3
	v_and_b32_e32 v3, v5, v7
	v_mbcnt_lo_u32_b32 v5, v3, 0
	v_mbcnt_hi_u32_b32 v5, v2, v5
	v_cmp_eq_u32_e64 s[0:1], 0, v5
	s_and_saveexec_b64 s[4:5], s[0:1]
; %bb.31:
	v_bcnt_u32_b32 v3, v3, 0
	v_lshlrev_b32_e32 v4, 2, v4
	v_bcnt_u32_b32 v2, v2, v3
	ds_add_u32 v4, v2
; %bb.32:
	s_or_b64 exec, exec, s[4:5]
	s_waitcnt lgkmcnt(0)
	s_barrier
	s_barrier
	s_and_saveexec_b64 s[0:1], vcc
	s_cbranch_execz .LBB19_34
; %bb.33:
	v_mov_b32_e32 v2, 0
	ds_read_b32 v4, v0
	v_lshlrev_b64 v[1:2], 2, v[1:2]
	v_mov_b32_e32 v3, s3
	v_add_co_u32_e32 v0, vcc, s2, v1
	v_addc_co_u32_e32 v1, vcc, v3, v2, vcc
	s_waitcnt lgkmcnt(0)
	global_store_dword v[0:1], v4, off
.LBB19_34:
	s_endpgm
	.section	.rodata,"a",@progbits
	.p2align	6, 0x0
	.amdhsa_kernel _Z16histogram_kernelILj255ELj15ELj255ELN6hipcub23BlockHistogramAlgorithmE0EjEvPT3_S3_
		.amdhsa_group_segment_fixed_size 1020
		.amdhsa_private_segment_fixed_size 0
		.amdhsa_kernarg_size 16
		.amdhsa_user_sgpr_count 6
		.amdhsa_user_sgpr_private_segment_buffer 1
		.amdhsa_user_sgpr_dispatch_ptr 0
		.amdhsa_user_sgpr_queue_ptr 0
		.amdhsa_user_sgpr_kernarg_segment_ptr 1
		.amdhsa_user_sgpr_dispatch_id 0
		.amdhsa_user_sgpr_flat_scratch_init 0
		.amdhsa_user_sgpr_private_segment_size 0
		.amdhsa_uses_dynamic_stack 0
		.amdhsa_system_sgpr_private_segment_wavefront_offset 0
		.amdhsa_system_sgpr_workgroup_id_x 1
		.amdhsa_system_sgpr_workgroup_id_y 0
		.amdhsa_system_sgpr_workgroup_id_z 0
		.amdhsa_system_sgpr_workgroup_info 0
		.amdhsa_system_vgpr_workitem_id 0
		.amdhsa_next_free_vgpr 22
		.amdhsa_next_free_sgpr 7
		.amdhsa_reserve_vcc 1
		.amdhsa_reserve_flat_scratch 0
		.amdhsa_float_round_mode_32 0
		.amdhsa_float_round_mode_16_64 0
		.amdhsa_float_denorm_mode_32 3
		.amdhsa_float_denorm_mode_16_64 3
		.amdhsa_dx10_clamp 1
		.amdhsa_ieee_mode 1
		.amdhsa_fp16_overflow 0
		.amdhsa_exception_fp_ieee_invalid_op 0
		.amdhsa_exception_fp_denorm_src 0
		.amdhsa_exception_fp_ieee_div_zero 0
		.amdhsa_exception_fp_ieee_overflow 0
		.amdhsa_exception_fp_ieee_underflow 0
		.amdhsa_exception_fp_ieee_inexact 0
		.amdhsa_exception_int_div_zero 0
	.end_amdhsa_kernel
	.section	.text._Z16histogram_kernelILj255ELj15ELj255ELN6hipcub23BlockHistogramAlgorithmE0EjEvPT3_S3_,"axG",@progbits,_Z16histogram_kernelILj255ELj15ELj255ELN6hipcub23BlockHistogramAlgorithmE0EjEvPT3_S3_,comdat
.Lfunc_end19:
	.size	_Z16histogram_kernelILj255ELj15ELj255ELN6hipcub23BlockHistogramAlgorithmE0EjEvPT3_S3_, .Lfunc_end19-_Z16histogram_kernelILj255ELj15ELj255ELN6hipcub23BlockHistogramAlgorithmE0EjEvPT3_S3_
                                        ; -- End function
	.set _Z16histogram_kernelILj255ELj15ELj255ELN6hipcub23BlockHistogramAlgorithmE0EjEvPT3_S3_.num_vgpr, 22
	.set _Z16histogram_kernelILj255ELj15ELj255ELN6hipcub23BlockHistogramAlgorithmE0EjEvPT3_S3_.num_agpr, 0
	.set _Z16histogram_kernelILj255ELj15ELj255ELN6hipcub23BlockHistogramAlgorithmE0EjEvPT3_S3_.numbered_sgpr, 7
	.set _Z16histogram_kernelILj255ELj15ELj255ELN6hipcub23BlockHistogramAlgorithmE0EjEvPT3_S3_.num_named_barrier, 0
	.set _Z16histogram_kernelILj255ELj15ELj255ELN6hipcub23BlockHistogramAlgorithmE0EjEvPT3_S3_.private_seg_size, 0
	.set _Z16histogram_kernelILj255ELj15ELj255ELN6hipcub23BlockHistogramAlgorithmE0EjEvPT3_S3_.uses_vcc, 1
	.set _Z16histogram_kernelILj255ELj15ELj255ELN6hipcub23BlockHistogramAlgorithmE0EjEvPT3_S3_.uses_flat_scratch, 0
	.set _Z16histogram_kernelILj255ELj15ELj255ELN6hipcub23BlockHistogramAlgorithmE0EjEvPT3_S3_.has_dyn_sized_stack, 0
	.set _Z16histogram_kernelILj255ELj15ELj255ELN6hipcub23BlockHistogramAlgorithmE0EjEvPT3_S3_.has_recursion, 0
	.set _Z16histogram_kernelILj255ELj15ELj255ELN6hipcub23BlockHistogramAlgorithmE0EjEvPT3_S3_.has_indirect_call, 0
	.section	.AMDGPU.csdata,"",@progbits
; Kernel info:
; codeLenInByte = 5992
; TotalNumSgprs: 11
; NumVgprs: 22
; ScratchSize: 0
; MemoryBound: 0
; FloatMode: 240
; IeeeMode: 1
; LDSByteSize: 1020 bytes/workgroup (compile time only)
; SGPRBlocks: 1
; VGPRBlocks: 5
; NumSGPRsForWavesPerEU: 11
; NumVGPRsForWavesPerEU: 22
; Occupancy: 10
; WaveLimiterHint : 0
; COMPUTE_PGM_RSRC2:SCRATCH_EN: 0
; COMPUTE_PGM_RSRC2:USER_SGPR: 6
; COMPUTE_PGM_RSRC2:TRAP_HANDLER: 0
; COMPUTE_PGM_RSRC2:TGID_X_EN: 1
; COMPUTE_PGM_RSRC2:TGID_Y_EN: 0
; COMPUTE_PGM_RSRC2:TGID_Z_EN: 0
; COMPUTE_PGM_RSRC2:TIDIG_COMP_CNT: 0
	.section	.text._Z16histogram_kernelILj162ELj7ELj162ELN6hipcub23BlockHistogramAlgorithmE0EjEvPT3_S3_,"axG",@progbits,_Z16histogram_kernelILj162ELj7ELj162ELN6hipcub23BlockHistogramAlgorithmE0EjEvPT3_S3_,comdat
	.protected	_Z16histogram_kernelILj162ELj7ELj162ELN6hipcub23BlockHistogramAlgorithmE0EjEvPT3_S3_ ; -- Begin function _Z16histogram_kernelILj162ELj7ELj162ELN6hipcub23BlockHistogramAlgorithmE0EjEvPT3_S3_
	.globl	_Z16histogram_kernelILj162ELj7ELj162ELN6hipcub23BlockHistogramAlgorithmE0EjEvPT3_S3_
	.p2align	8
	.type	_Z16histogram_kernelILj162ELj7ELj162ELN6hipcub23BlockHistogramAlgorithmE0EjEvPT3_S3_,@function
_Z16histogram_kernelILj162ELj7ELj162ELN6hipcub23BlockHistogramAlgorithmE0EjEvPT3_S3_: ; @_Z16histogram_kernelILj162ELj7ELj162ELN6hipcub23BlockHistogramAlgorithmE0EjEvPT3_S3_
; %bb.0:
	s_mulk_i32 s6, 0xa2
	v_add_u32_e32 v1, s6, v0
	v_mul_lo_u32 v3, v1, 7
	s_load_dwordx4 s[0:3], s[4:5], 0x0
	v_mov_b32_e32 v2, 0
	v_mov_b32_e32 v4, v2
	v_lshlrev_b64 v[4:5], 2, v[3:4]
	s_waitcnt lgkmcnt(0)
	v_mov_b32_e32 v6, s1
	v_add_co_u32_e32 v11, vcc, s0, v4
	v_addc_co_u32_e32 v12, vcc, v6, v5, vcc
	v_add_u32_e32 v4, 1, v3
	v_mov_b32_e32 v5, v2
	v_lshlrev_b64 v[4:5], 2, v[4:5]
	v_add_co_u32_e32 v13, vcc, s0, v4
	v_addc_co_u32_e32 v14, vcc, v6, v5, vcc
	v_add_u32_e32 v4, 2, v3
	v_mov_b32_e32 v5, v2
	v_lshlrev_b64 v[4:5], 2, v[4:5]
	;; [unrolled: 5-line block ×5, first 2 shown]
	v_add_u32_e32 v3, 6, v3
	v_add_co_u32_e32 v21, vcc, s0, v4
	v_mov_b32_e32 v4, v2
	v_lshlrev_b64 v[3:4], 2, v[3:4]
	v_addc_co_u32_e32 v22, vcc, v6, v5, vcc
	v_mov_b32_e32 v5, s1
	v_add_co_u32_e32 v23, vcc, s0, v3
	v_addc_co_u32_e32 v24, vcc, v5, v4, vcc
	global_load_dword v10, v[11:12], off
	global_load_dword v9, v[13:14], off
	global_load_dword v8, v[15:16], off
	global_load_dword v7, v[17:18], off
	global_load_dword v6, v[19:20], off
	global_load_dword v5, v[21:22], off
	global_load_dword v4, v[23:24], off
	s_movk_i32 s0, 0xa2
	v_cmp_gt_u32_e32 vcc, s0, v0
	v_lshlrev_b32_e32 v0, 2, v0
	s_and_saveexec_b64 s[0:1], vcc
; %bb.1:
	ds_write_b32 v0, v2
; %bb.2:
	s_or_b64 exec, exec, s[0:1]
	s_waitcnt vmcnt(6)
	v_and_b32_e32 v3, 1, v10
	v_add_co_u32_e64 v11, s[0:1], -1, v3
	v_addc_co_u32_e64 v12, s[0:1], 0, -1, s[0:1]
	v_cmp_ne_u32_e64 s[0:1], 0, v3
	v_xor_b32_e32 v3, s1, v12
	v_and_b32_e32 v12, exec_hi, v3
	v_lshlrev_b32_e32 v3, 30, v10
	v_xor_b32_e32 v11, s0, v11
	v_cmp_gt_i64_e64 s[0:1], 0, v[2:3]
	v_not_b32_e32 v3, v3
	v_ashrrev_i32_e32 v3, 31, v3
	v_and_b32_e32 v11, exec_lo, v11
	v_xor_b32_e32 v13, s1, v3
	v_xor_b32_e32 v3, s0, v3
	v_and_b32_e32 v11, v11, v3
	v_lshlrev_b32_e32 v3, 29, v10
	v_cmp_gt_i64_e64 s[0:1], 0, v[2:3]
	v_not_b32_e32 v3, v3
	v_ashrrev_i32_e32 v3, 31, v3
	v_and_b32_e32 v12, v12, v13
	v_xor_b32_e32 v13, s1, v3
	v_xor_b32_e32 v3, s0, v3
	v_and_b32_e32 v11, v11, v3
	v_lshlrev_b32_e32 v3, 28, v10
	v_cmp_gt_i64_e64 s[0:1], 0, v[2:3]
	v_not_b32_e32 v3, v3
	v_ashrrev_i32_e32 v3, 31, v3
	v_and_b32_e32 v12, v12, v13
	;; [unrolled: 8-line block ×6, first 2 shown]
	v_xor_b32_e32 v3, s1, v2
	v_xor_b32_e32 v13, s0, v2
	v_and_b32_e32 v2, v12, v3
	v_and_b32_e32 v3, v11, v13
	v_mbcnt_lo_u32_b32 v11, v3, 0
	v_mbcnt_hi_u32_b32 v11, v2, v11
	v_cmp_eq_u32_e64 s[0:1], 0, v11
	s_waitcnt vmcnt(0) lgkmcnt(0)
	s_barrier
	s_and_saveexec_b64 s[4:5], s[0:1]
; %bb.3:
	v_bcnt_u32_b32 v3, v3, 0
	v_lshlrev_b32_e32 v10, 2, v10
	v_bcnt_u32_b32 v2, v2, v3
	ds_add_u32 v10, v2
; %bb.4:
	s_or_b64 exec, exec, s[4:5]
	v_and_b32_e32 v3, 1, v9
	v_add_co_u32_e64 v10, s[0:1], -1, v3
	v_addc_co_u32_e64 v11, s[0:1], 0, -1, s[0:1]
	v_cmp_ne_u32_e64 s[0:1], 0, v3
	v_xor_b32_e32 v3, s1, v11
	v_mov_b32_e32 v2, 0
	v_and_b32_e32 v11, exec_hi, v3
	v_lshlrev_b32_e32 v3, 30, v9
	v_xor_b32_e32 v10, s0, v10
	v_cmp_gt_i64_e64 s[0:1], 0, v[2:3]
	v_not_b32_e32 v3, v3
	v_ashrrev_i32_e32 v3, 31, v3
	v_and_b32_e32 v10, exec_lo, v10
	v_xor_b32_e32 v12, s1, v3
	v_xor_b32_e32 v3, s0, v3
	v_and_b32_e32 v10, v10, v3
	v_lshlrev_b32_e32 v3, 29, v9
	v_cmp_gt_i64_e64 s[0:1], 0, v[2:3]
	v_not_b32_e32 v3, v3
	v_ashrrev_i32_e32 v3, 31, v3
	v_and_b32_e32 v11, v11, v12
	v_xor_b32_e32 v12, s1, v3
	v_xor_b32_e32 v3, s0, v3
	v_and_b32_e32 v10, v10, v3
	v_lshlrev_b32_e32 v3, 28, v9
	v_cmp_gt_i64_e64 s[0:1], 0, v[2:3]
	v_not_b32_e32 v3, v3
	v_ashrrev_i32_e32 v3, 31, v3
	v_and_b32_e32 v11, v11, v12
	;; [unrolled: 8-line block ×5, first 2 shown]
	v_xor_b32_e32 v12, s1, v3
	v_xor_b32_e32 v3, s0, v3
	v_and_b32_e32 v10, v10, v3
	v_lshlrev_b32_e32 v3, 24, v9
	v_cmp_gt_i64_e64 s[0:1], 0, v[2:3]
	v_not_b32_e32 v3, v3
	v_ashrrev_i32_e32 v3, 31, v3
	v_xor_b32_e32 v13, s0, v3
	v_and_b32_e32 v11, v11, v12
	v_xor_b32_e32 v12, s1, v3
	v_and_b32_e32 v10, v10, v13
	v_and_b32_e32 v3, v11, v12
	v_mbcnt_lo_u32_b32 v11, v10, 0
	v_mbcnt_hi_u32_b32 v11, v3, v11
	v_cmp_eq_u32_e64 s[0:1], 0, v11
	s_and_saveexec_b64 s[4:5], s[0:1]
; %bb.5:
	v_bcnt_u32_b32 v10, v10, 0
	v_lshlrev_b32_e32 v9, 2, v9
	v_bcnt_u32_b32 v3, v3, v10
	ds_add_u32 v9, v3
; %bb.6:
	s_or_b64 exec, exec, s[4:5]
	v_and_b32_e32 v3, 1, v8
	v_add_co_u32_e64 v9, s[0:1], -1, v3
	v_addc_co_u32_e64 v10, s[0:1], 0, -1, s[0:1]
	v_cmp_ne_u32_e64 s[0:1], 0, v3
	v_xor_b32_e32 v3, s1, v10
	v_and_b32_e32 v10, exec_hi, v3
	v_lshlrev_b32_e32 v3, 30, v8
	v_xor_b32_e32 v9, s0, v9
	v_cmp_gt_i64_e64 s[0:1], 0, v[2:3]
	v_not_b32_e32 v3, v3
	v_ashrrev_i32_e32 v3, 31, v3
	v_and_b32_e32 v9, exec_lo, v9
	v_xor_b32_e32 v11, s1, v3
	v_xor_b32_e32 v3, s0, v3
	v_and_b32_e32 v9, v9, v3
	v_lshlrev_b32_e32 v3, 29, v8
	v_cmp_gt_i64_e64 s[0:1], 0, v[2:3]
	v_not_b32_e32 v3, v3
	v_ashrrev_i32_e32 v3, 31, v3
	v_and_b32_e32 v10, v10, v11
	v_xor_b32_e32 v11, s1, v3
	v_xor_b32_e32 v3, s0, v3
	v_and_b32_e32 v9, v9, v3
	v_lshlrev_b32_e32 v3, 28, v8
	v_cmp_gt_i64_e64 s[0:1], 0, v[2:3]
	v_not_b32_e32 v3, v3
	v_ashrrev_i32_e32 v3, 31, v3
	v_and_b32_e32 v10, v10, v11
	;; [unrolled: 8-line block ×6, first 2 shown]
	v_xor_b32_e32 v3, s1, v2
	v_xor_b32_e32 v11, s0, v2
	v_and_b32_e32 v2, v10, v3
	v_and_b32_e32 v3, v9, v11
	v_mbcnt_lo_u32_b32 v9, v3, 0
	v_mbcnt_hi_u32_b32 v9, v2, v9
	v_cmp_eq_u32_e64 s[0:1], 0, v9
	s_and_saveexec_b64 s[4:5], s[0:1]
; %bb.7:
	v_bcnt_u32_b32 v3, v3, 0
	v_lshlrev_b32_e32 v8, 2, v8
	v_bcnt_u32_b32 v2, v2, v3
	ds_add_u32 v8, v2
; %bb.8:
	s_or_b64 exec, exec, s[4:5]
	v_and_b32_e32 v3, 1, v7
	v_add_co_u32_e64 v8, s[0:1], -1, v3
	v_addc_co_u32_e64 v9, s[0:1], 0, -1, s[0:1]
	v_cmp_ne_u32_e64 s[0:1], 0, v3
	v_xor_b32_e32 v3, s1, v9
	v_mov_b32_e32 v2, 0
	v_and_b32_e32 v9, exec_hi, v3
	v_lshlrev_b32_e32 v3, 30, v7
	v_xor_b32_e32 v8, s0, v8
	v_cmp_gt_i64_e64 s[0:1], 0, v[2:3]
	v_not_b32_e32 v3, v3
	v_ashrrev_i32_e32 v3, 31, v3
	v_and_b32_e32 v8, exec_lo, v8
	v_xor_b32_e32 v10, s1, v3
	v_xor_b32_e32 v3, s0, v3
	v_and_b32_e32 v8, v8, v3
	v_lshlrev_b32_e32 v3, 29, v7
	v_cmp_gt_i64_e64 s[0:1], 0, v[2:3]
	v_not_b32_e32 v3, v3
	v_ashrrev_i32_e32 v3, 31, v3
	v_and_b32_e32 v9, v9, v10
	v_xor_b32_e32 v10, s1, v3
	v_xor_b32_e32 v3, s0, v3
	v_and_b32_e32 v8, v8, v3
	v_lshlrev_b32_e32 v3, 28, v7
	v_cmp_gt_i64_e64 s[0:1], 0, v[2:3]
	v_not_b32_e32 v3, v3
	v_ashrrev_i32_e32 v3, 31, v3
	v_and_b32_e32 v9, v9, v10
	;; [unrolled: 8-line block ×5, first 2 shown]
	v_xor_b32_e32 v10, s1, v3
	v_xor_b32_e32 v3, s0, v3
	v_and_b32_e32 v8, v8, v3
	v_lshlrev_b32_e32 v3, 24, v7
	v_cmp_gt_i64_e64 s[0:1], 0, v[2:3]
	v_not_b32_e32 v3, v3
	v_ashrrev_i32_e32 v3, 31, v3
	v_xor_b32_e32 v11, s0, v3
	v_and_b32_e32 v9, v9, v10
	v_xor_b32_e32 v10, s1, v3
	v_and_b32_e32 v8, v8, v11
	v_and_b32_e32 v3, v9, v10
	v_mbcnt_lo_u32_b32 v9, v8, 0
	v_mbcnt_hi_u32_b32 v9, v3, v9
	v_cmp_eq_u32_e64 s[0:1], 0, v9
	s_and_saveexec_b64 s[4:5], s[0:1]
; %bb.9:
	v_bcnt_u32_b32 v8, v8, 0
	v_lshlrev_b32_e32 v7, 2, v7
	v_bcnt_u32_b32 v3, v3, v8
	ds_add_u32 v7, v3
; %bb.10:
	s_or_b64 exec, exec, s[4:5]
	v_and_b32_e32 v3, 1, v6
	v_add_co_u32_e64 v7, s[0:1], -1, v3
	v_addc_co_u32_e64 v8, s[0:1], 0, -1, s[0:1]
	v_cmp_ne_u32_e64 s[0:1], 0, v3
	v_xor_b32_e32 v3, s1, v8
	v_and_b32_e32 v8, exec_hi, v3
	v_lshlrev_b32_e32 v3, 30, v6
	v_xor_b32_e32 v7, s0, v7
	v_cmp_gt_i64_e64 s[0:1], 0, v[2:3]
	v_not_b32_e32 v3, v3
	v_ashrrev_i32_e32 v3, 31, v3
	v_and_b32_e32 v7, exec_lo, v7
	v_xor_b32_e32 v9, s1, v3
	v_xor_b32_e32 v3, s0, v3
	v_and_b32_e32 v7, v7, v3
	v_lshlrev_b32_e32 v3, 29, v6
	v_cmp_gt_i64_e64 s[0:1], 0, v[2:3]
	v_not_b32_e32 v3, v3
	v_ashrrev_i32_e32 v3, 31, v3
	v_and_b32_e32 v8, v8, v9
	v_xor_b32_e32 v9, s1, v3
	v_xor_b32_e32 v3, s0, v3
	v_and_b32_e32 v7, v7, v3
	v_lshlrev_b32_e32 v3, 28, v6
	v_cmp_gt_i64_e64 s[0:1], 0, v[2:3]
	v_not_b32_e32 v3, v3
	v_ashrrev_i32_e32 v3, 31, v3
	v_and_b32_e32 v8, v8, v9
	;; [unrolled: 8-line block ×6, first 2 shown]
	v_xor_b32_e32 v3, s1, v2
	v_xor_b32_e32 v9, s0, v2
	v_and_b32_e32 v2, v8, v3
	v_and_b32_e32 v3, v7, v9
	v_mbcnt_lo_u32_b32 v7, v3, 0
	v_mbcnt_hi_u32_b32 v7, v2, v7
	v_cmp_eq_u32_e64 s[0:1], 0, v7
	s_and_saveexec_b64 s[4:5], s[0:1]
; %bb.11:
	v_bcnt_u32_b32 v3, v3, 0
	v_lshlrev_b32_e32 v6, 2, v6
	v_bcnt_u32_b32 v2, v2, v3
	ds_add_u32 v6, v2
; %bb.12:
	s_or_b64 exec, exec, s[4:5]
	v_and_b32_e32 v3, 1, v5
	v_add_co_u32_e64 v6, s[0:1], -1, v3
	v_addc_co_u32_e64 v7, s[0:1], 0, -1, s[0:1]
	v_cmp_ne_u32_e64 s[0:1], 0, v3
	v_xor_b32_e32 v3, s1, v7
	v_mov_b32_e32 v2, 0
	v_and_b32_e32 v7, exec_hi, v3
	v_lshlrev_b32_e32 v3, 30, v5
	v_xor_b32_e32 v6, s0, v6
	v_cmp_gt_i64_e64 s[0:1], 0, v[2:3]
	v_not_b32_e32 v3, v3
	v_ashrrev_i32_e32 v3, 31, v3
	v_and_b32_e32 v6, exec_lo, v6
	v_xor_b32_e32 v8, s1, v3
	v_xor_b32_e32 v3, s0, v3
	v_and_b32_e32 v6, v6, v3
	v_lshlrev_b32_e32 v3, 29, v5
	v_cmp_gt_i64_e64 s[0:1], 0, v[2:3]
	v_not_b32_e32 v3, v3
	v_ashrrev_i32_e32 v3, 31, v3
	v_and_b32_e32 v7, v7, v8
	v_xor_b32_e32 v8, s1, v3
	v_xor_b32_e32 v3, s0, v3
	v_and_b32_e32 v6, v6, v3
	v_lshlrev_b32_e32 v3, 28, v5
	v_cmp_gt_i64_e64 s[0:1], 0, v[2:3]
	v_not_b32_e32 v3, v3
	v_ashrrev_i32_e32 v3, 31, v3
	v_and_b32_e32 v7, v7, v8
	;; [unrolled: 8-line block ×5, first 2 shown]
	v_xor_b32_e32 v8, s1, v3
	v_xor_b32_e32 v3, s0, v3
	v_and_b32_e32 v6, v6, v3
	v_lshlrev_b32_e32 v3, 24, v5
	v_cmp_gt_i64_e64 s[0:1], 0, v[2:3]
	v_not_b32_e32 v3, v3
	v_ashrrev_i32_e32 v3, 31, v3
	v_xor_b32_e32 v9, s0, v3
	v_and_b32_e32 v7, v7, v8
	v_xor_b32_e32 v8, s1, v3
	v_and_b32_e32 v6, v6, v9
	v_and_b32_e32 v3, v7, v8
	v_mbcnt_lo_u32_b32 v7, v6, 0
	v_mbcnt_hi_u32_b32 v7, v3, v7
	v_cmp_eq_u32_e64 s[0:1], 0, v7
	s_and_saveexec_b64 s[4:5], s[0:1]
; %bb.13:
	v_bcnt_u32_b32 v6, v6, 0
	v_lshlrev_b32_e32 v5, 2, v5
	v_bcnt_u32_b32 v3, v3, v6
	ds_add_u32 v5, v3
; %bb.14:
	s_or_b64 exec, exec, s[4:5]
	v_and_b32_e32 v3, 1, v4
	v_add_co_u32_e64 v5, s[0:1], -1, v3
	v_addc_co_u32_e64 v6, s[0:1], 0, -1, s[0:1]
	v_cmp_ne_u32_e64 s[0:1], 0, v3
	v_xor_b32_e32 v3, s1, v6
	v_and_b32_e32 v6, exec_hi, v3
	v_lshlrev_b32_e32 v3, 30, v4
	v_xor_b32_e32 v5, s0, v5
	v_cmp_gt_i64_e64 s[0:1], 0, v[2:3]
	v_not_b32_e32 v3, v3
	v_ashrrev_i32_e32 v3, 31, v3
	v_and_b32_e32 v5, exec_lo, v5
	v_xor_b32_e32 v7, s1, v3
	v_xor_b32_e32 v3, s0, v3
	v_and_b32_e32 v5, v5, v3
	v_lshlrev_b32_e32 v3, 29, v4
	v_cmp_gt_i64_e64 s[0:1], 0, v[2:3]
	v_not_b32_e32 v3, v3
	v_ashrrev_i32_e32 v3, 31, v3
	v_and_b32_e32 v6, v6, v7
	v_xor_b32_e32 v7, s1, v3
	v_xor_b32_e32 v3, s0, v3
	v_and_b32_e32 v5, v5, v3
	v_lshlrev_b32_e32 v3, 28, v4
	v_cmp_gt_i64_e64 s[0:1], 0, v[2:3]
	v_not_b32_e32 v3, v3
	v_ashrrev_i32_e32 v3, 31, v3
	v_and_b32_e32 v6, v6, v7
	;; [unrolled: 8-line block ×6, first 2 shown]
	v_xor_b32_e32 v3, s1, v2
	v_xor_b32_e32 v7, s0, v2
	v_and_b32_e32 v2, v6, v3
	v_and_b32_e32 v3, v5, v7
	v_mbcnt_lo_u32_b32 v5, v3, 0
	v_mbcnt_hi_u32_b32 v5, v2, v5
	v_cmp_eq_u32_e64 s[0:1], 0, v5
	s_and_saveexec_b64 s[4:5], s[0:1]
; %bb.15:
	v_bcnt_u32_b32 v3, v3, 0
	v_lshlrev_b32_e32 v4, 2, v4
	v_bcnt_u32_b32 v2, v2, v3
	ds_add_u32 v4, v2
; %bb.16:
	s_or_b64 exec, exec, s[4:5]
	s_waitcnt lgkmcnt(0)
	s_barrier
	s_barrier
	s_and_saveexec_b64 s[0:1], vcc
	s_cbranch_execz .LBB20_18
; %bb.17:
	v_mov_b32_e32 v2, 0
	ds_read_b32 v4, v0
	v_lshlrev_b64 v[1:2], 2, v[1:2]
	v_mov_b32_e32 v3, s3
	v_add_co_u32_e32 v0, vcc, s2, v1
	v_addc_co_u32_e32 v1, vcc, v3, v2, vcc
	s_waitcnt lgkmcnt(0)
	global_store_dword v[0:1], v4, off
.LBB20_18:
	s_endpgm
	.section	.rodata,"a",@progbits
	.p2align	6, 0x0
	.amdhsa_kernel _Z16histogram_kernelILj162ELj7ELj162ELN6hipcub23BlockHistogramAlgorithmE0EjEvPT3_S3_
		.amdhsa_group_segment_fixed_size 648
		.amdhsa_private_segment_fixed_size 0
		.amdhsa_kernarg_size 16
		.amdhsa_user_sgpr_count 6
		.amdhsa_user_sgpr_private_segment_buffer 1
		.amdhsa_user_sgpr_dispatch_ptr 0
		.amdhsa_user_sgpr_queue_ptr 0
		.amdhsa_user_sgpr_kernarg_segment_ptr 1
		.amdhsa_user_sgpr_dispatch_id 0
		.amdhsa_user_sgpr_flat_scratch_init 0
		.amdhsa_user_sgpr_private_segment_size 0
		.amdhsa_uses_dynamic_stack 0
		.amdhsa_system_sgpr_private_segment_wavefront_offset 0
		.amdhsa_system_sgpr_workgroup_id_x 1
		.amdhsa_system_sgpr_workgroup_id_y 0
		.amdhsa_system_sgpr_workgroup_id_z 0
		.amdhsa_system_sgpr_workgroup_info 0
		.amdhsa_system_vgpr_workitem_id 0
		.amdhsa_next_free_vgpr 25
		.amdhsa_next_free_sgpr 7
		.amdhsa_reserve_vcc 1
		.amdhsa_reserve_flat_scratch 0
		.amdhsa_float_round_mode_32 0
		.amdhsa_float_round_mode_16_64 0
		.amdhsa_float_denorm_mode_32 3
		.amdhsa_float_denorm_mode_16_64 3
		.amdhsa_dx10_clamp 1
		.amdhsa_ieee_mode 1
		.amdhsa_fp16_overflow 0
		.amdhsa_exception_fp_ieee_invalid_op 0
		.amdhsa_exception_fp_denorm_src 0
		.amdhsa_exception_fp_ieee_div_zero 0
		.amdhsa_exception_fp_ieee_overflow 0
		.amdhsa_exception_fp_ieee_underflow 0
		.amdhsa_exception_fp_ieee_inexact 0
		.amdhsa_exception_int_div_zero 0
	.end_amdhsa_kernel
	.section	.text._Z16histogram_kernelILj162ELj7ELj162ELN6hipcub23BlockHistogramAlgorithmE0EjEvPT3_S3_,"axG",@progbits,_Z16histogram_kernelILj162ELj7ELj162ELN6hipcub23BlockHistogramAlgorithmE0EjEvPT3_S3_,comdat
.Lfunc_end20:
	.size	_Z16histogram_kernelILj162ELj7ELj162ELN6hipcub23BlockHistogramAlgorithmE0EjEvPT3_S3_, .Lfunc_end20-_Z16histogram_kernelILj162ELj7ELj162ELN6hipcub23BlockHistogramAlgorithmE0EjEvPT3_S3_
                                        ; -- End function
	.set _Z16histogram_kernelILj162ELj7ELj162ELN6hipcub23BlockHistogramAlgorithmE0EjEvPT3_S3_.num_vgpr, 25
	.set _Z16histogram_kernelILj162ELj7ELj162ELN6hipcub23BlockHistogramAlgorithmE0EjEvPT3_S3_.num_agpr, 0
	.set _Z16histogram_kernelILj162ELj7ELj162ELN6hipcub23BlockHistogramAlgorithmE0EjEvPT3_S3_.numbered_sgpr, 7
	.set _Z16histogram_kernelILj162ELj7ELj162ELN6hipcub23BlockHistogramAlgorithmE0EjEvPT3_S3_.num_named_barrier, 0
	.set _Z16histogram_kernelILj162ELj7ELj162ELN6hipcub23BlockHistogramAlgorithmE0EjEvPT3_S3_.private_seg_size, 0
	.set _Z16histogram_kernelILj162ELj7ELj162ELN6hipcub23BlockHistogramAlgorithmE0EjEvPT3_S3_.uses_vcc, 1
	.set _Z16histogram_kernelILj162ELj7ELj162ELN6hipcub23BlockHistogramAlgorithmE0EjEvPT3_S3_.uses_flat_scratch, 0
	.set _Z16histogram_kernelILj162ELj7ELj162ELN6hipcub23BlockHistogramAlgorithmE0EjEvPT3_S3_.has_dyn_sized_stack, 0
	.set _Z16histogram_kernelILj162ELj7ELj162ELN6hipcub23BlockHistogramAlgorithmE0EjEvPT3_S3_.has_recursion, 0
	.set _Z16histogram_kernelILj162ELj7ELj162ELN6hipcub23BlockHistogramAlgorithmE0EjEvPT3_S3_.has_indirect_call, 0
	.section	.AMDGPU.csdata,"",@progbits
; Kernel info:
; codeLenInByte = 2872
; TotalNumSgprs: 11
; NumVgprs: 25
; ScratchSize: 0
; MemoryBound: 0
; FloatMode: 240
; IeeeMode: 1
; LDSByteSize: 648 bytes/workgroup (compile time only)
; SGPRBlocks: 1
; VGPRBlocks: 6
; NumSGPRsForWavesPerEU: 11
; NumVGPRsForWavesPerEU: 25
; Occupancy: 9
; WaveLimiterHint : 0
; COMPUTE_PGM_RSRC2:SCRATCH_EN: 0
; COMPUTE_PGM_RSRC2:USER_SGPR: 6
; COMPUTE_PGM_RSRC2:TRAP_HANDLER: 0
; COMPUTE_PGM_RSRC2:TGID_X_EN: 1
; COMPUTE_PGM_RSRC2:TGID_Y_EN: 0
; COMPUTE_PGM_RSRC2:TGID_Z_EN: 0
; COMPUTE_PGM_RSRC2:TIDIG_COMP_CNT: 0
	.section	.text._Z16histogram_kernelILj65ELj5ELj65ELN6hipcub23BlockHistogramAlgorithmE0EjEvPT3_S3_,"axG",@progbits,_Z16histogram_kernelILj65ELj5ELj65ELN6hipcub23BlockHistogramAlgorithmE0EjEvPT3_S3_,comdat
	.protected	_Z16histogram_kernelILj65ELj5ELj65ELN6hipcub23BlockHistogramAlgorithmE0EjEvPT3_S3_ ; -- Begin function _Z16histogram_kernelILj65ELj5ELj65ELN6hipcub23BlockHistogramAlgorithmE0EjEvPT3_S3_
	.globl	_Z16histogram_kernelILj65ELj5ELj65ELN6hipcub23BlockHistogramAlgorithmE0EjEvPT3_S3_
	.p2align	8
	.type	_Z16histogram_kernelILj65ELj5ELj65ELN6hipcub23BlockHistogramAlgorithmE0EjEvPT3_S3_,@function
_Z16histogram_kernelILj65ELj5ELj65ELN6hipcub23BlockHistogramAlgorithmE0EjEvPT3_S3_: ; @_Z16histogram_kernelILj65ELj5ELj65ELN6hipcub23BlockHistogramAlgorithmE0EjEvPT3_S3_
; %bb.0:
	s_load_dwordx4 s[0:3], s[4:5], 0x0
	s_mulk_i32 s6, 0x41
	v_add_u32_e32 v1, s6, v0
	v_mov_b32_e32 v2, 0
	v_lshl_add_u32 v3, v1, 2, v1
	v_mov_b32_e32 v4, v2
	v_lshlrev_b64 v[4:5], 2, v[3:4]
	s_waitcnt lgkmcnt(0)
	v_mov_b32_e32 v6, s1
	v_add_co_u32_e32 v9, vcc, s0, v4
	v_addc_co_u32_e32 v10, vcc, v6, v5, vcc
	v_add_u32_e32 v4, 1, v3
	v_mov_b32_e32 v5, v2
	v_lshlrev_b64 v[4:5], 2, v[4:5]
	v_add_co_u32_e32 v11, vcc, s0, v4
	v_addc_co_u32_e32 v12, vcc, v6, v5, vcc
	v_add_u32_e32 v4, 2, v3
	v_mov_b32_e32 v5, v2
	v_lshlrev_b64 v[4:5], 2, v[4:5]
	;; [unrolled: 5-line block ×3, first 2 shown]
	v_add_u32_e32 v3, 4, v3
	v_add_co_u32_e32 v15, vcc, s0, v4
	v_mov_b32_e32 v4, v2
	v_lshlrev_b64 v[3:4], 2, v[3:4]
	v_addc_co_u32_e32 v16, vcc, v6, v5, vcc
	v_mov_b32_e32 v5, s1
	v_add_co_u32_e32 v17, vcc, s0, v3
	v_addc_co_u32_e32 v18, vcc, v5, v4, vcc
	global_load_dword v8, v[9:10], off
	global_load_dword v7, v[11:12], off
	;; [unrolled: 1-line block ×5, first 2 shown]
	s_movk_i32 s0, 0x41
	v_cmp_gt_u32_e32 vcc, s0, v0
	v_lshlrev_b32_e32 v0, 2, v0
	s_and_saveexec_b64 s[0:1], vcc
; %bb.1:
	ds_write_b32 v0, v2
; %bb.2:
	s_or_b64 exec, exec, s[0:1]
	s_waitcnt vmcnt(4)
	v_and_b32_e32 v3, 1, v8
	v_add_co_u32_e64 v9, s[0:1], -1, v3
	v_addc_co_u32_e64 v10, s[0:1], 0, -1, s[0:1]
	v_cmp_ne_u32_e64 s[0:1], 0, v3
	v_xor_b32_e32 v3, s1, v10
	v_and_b32_e32 v10, exec_hi, v3
	v_lshlrev_b32_e32 v3, 30, v8
	v_xor_b32_e32 v9, s0, v9
	v_cmp_gt_i64_e64 s[0:1], 0, v[2:3]
	v_not_b32_e32 v3, v3
	v_ashrrev_i32_e32 v3, 31, v3
	v_and_b32_e32 v9, exec_lo, v9
	v_xor_b32_e32 v11, s1, v3
	v_xor_b32_e32 v3, s0, v3
	v_and_b32_e32 v9, v9, v3
	v_lshlrev_b32_e32 v3, 29, v8
	v_cmp_gt_i64_e64 s[0:1], 0, v[2:3]
	v_not_b32_e32 v3, v3
	v_ashrrev_i32_e32 v3, 31, v3
	v_and_b32_e32 v10, v10, v11
	v_xor_b32_e32 v11, s1, v3
	v_xor_b32_e32 v3, s0, v3
	v_and_b32_e32 v9, v9, v3
	v_lshlrev_b32_e32 v3, 28, v8
	v_cmp_gt_i64_e64 s[0:1], 0, v[2:3]
	v_not_b32_e32 v3, v3
	v_ashrrev_i32_e32 v3, 31, v3
	v_and_b32_e32 v10, v10, v11
	;; [unrolled: 8-line block ×5, first 2 shown]
	v_xor_b32_e32 v3, s1, v2
	v_xor_b32_e32 v11, s0, v2
	v_and_b32_e32 v2, v10, v3
	v_and_b32_e32 v3, v9, v11
	v_mbcnt_lo_u32_b32 v9, v3, 0
	v_mbcnt_hi_u32_b32 v9, v2, v9
	v_cmp_eq_u32_e64 s[0:1], 0, v9
	s_waitcnt vmcnt(0) lgkmcnt(0)
	s_barrier
	s_and_saveexec_b64 s[4:5], s[0:1]
; %bb.3:
	v_bcnt_u32_b32 v3, v3, 0
	v_lshlrev_b32_e32 v8, 2, v8
	v_bcnt_u32_b32 v2, v2, v3
	ds_add_u32 v8, v2
; %bb.4:
	s_or_b64 exec, exec, s[4:5]
	v_and_b32_e32 v3, 1, v7
	v_add_co_u32_e64 v8, s[0:1], -1, v3
	v_addc_co_u32_e64 v9, s[0:1], 0, -1, s[0:1]
	v_cmp_ne_u32_e64 s[0:1], 0, v3
	v_xor_b32_e32 v3, s1, v9
	v_mov_b32_e32 v2, 0
	v_and_b32_e32 v9, exec_hi, v3
	v_lshlrev_b32_e32 v3, 30, v7
	v_xor_b32_e32 v8, s0, v8
	v_cmp_gt_i64_e64 s[0:1], 0, v[2:3]
	v_not_b32_e32 v3, v3
	v_ashrrev_i32_e32 v3, 31, v3
	v_and_b32_e32 v8, exec_lo, v8
	v_xor_b32_e32 v10, s1, v3
	v_xor_b32_e32 v3, s0, v3
	v_and_b32_e32 v8, v8, v3
	v_lshlrev_b32_e32 v3, 29, v7
	v_cmp_gt_i64_e64 s[0:1], 0, v[2:3]
	v_not_b32_e32 v3, v3
	v_ashrrev_i32_e32 v3, 31, v3
	v_and_b32_e32 v9, v9, v10
	v_xor_b32_e32 v10, s1, v3
	v_xor_b32_e32 v3, s0, v3
	v_and_b32_e32 v8, v8, v3
	v_lshlrev_b32_e32 v3, 28, v7
	v_cmp_gt_i64_e64 s[0:1], 0, v[2:3]
	v_not_b32_e32 v3, v3
	v_ashrrev_i32_e32 v3, 31, v3
	v_and_b32_e32 v9, v9, v10
	;; [unrolled: 8-line block ×4, first 2 shown]
	v_xor_b32_e32 v10, s1, v3
	v_xor_b32_e32 v3, s0, v3
	v_and_b32_e32 v8, v8, v3
	v_lshlrev_b32_e32 v3, 25, v7
	v_cmp_gt_i64_e64 s[0:1], 0, v[2:3]
	v_not_b32_e32 v3, v3
	v_ashrrev_i32_e32 v3, 31, v3
	v_xor_b32_e32 v11, s0, v3
	v_and_b32_e32 v9, v9, v10
	v_xor_b32_e32 v10, s1, v3
	v_and_b32_e32 v8, v8, v11
	v_and_b32_e32 v3, v9, v10
	v_mbcnt_lo_u32_b32 v9, v8, 0
	v_mbcnt_hi_u32_b32 v9, v3, v9
	v_cmp_eq_u32_e64 s[0:1], 0, v9
	s_and_saveexec_b64 s[4:5], s[0:1]
; %bb.5:
	v_bcnt_u32_b32 v8, v8, 0
	v_lshlrev_b32_e32 v7, 2, v7
	v_bcnt_u32_b32 v3, v3, v8
	ds_add_u32 v7, v3
; %bb.6:
	s_or_b64 exec, exec, s[4:5]
	v_and_b32_e32 v3, 1, v6
	v_add_co_u32_e64 v7, s[0:1], -1, v3
	v_addc_co_u32_e64 v8, s[0:1], 0, -1, s[0:1]
	v_cmp_ne_u32_e64 s[0:1], 0, v3
	v_xor_b32_e32 v3, s1, v8
	v_and_b32_e32 v8, exec_hi, v3
	v_lshlrev_b32_e32 v3, 30, v6
	v_xor_b32_e32 v7, s0, v7
	v_cmp_gt_i64_e64 s[0:1], 0, v[2:3]
	v_not_b32_e32 v3, v3
	v_ashrrev_i32_e32 v3, 31, v3
	v_and_b32_e32 v7, exec_lo, v7
	v_xor_b32_e32 v9, s1, v3
	v_xor_b32_e32 v3, s0, v3
	v_and_b32_e32 v7, v7, v3
	v_lshlrev_b32_e32 v3, 29, v6
	v_cmp_gt_i64_e64 s[0:1], 0, v[2:3]
	v_not_b32_e32 v3, v3
	v_ashrrev_i32_e32 v3, 31, v3
	v_and_b32_e32 v8, v8, v9
	v_xor_b32_e32 v9, s1, v3
	v_xor_b32_e32 v3, s0, v3
	v_and_b32_e32 v7, v7, v3
	v_lshlrev_b32_e32 v3, 28, v6
	v_cmp_gt_i64_e64 s[0:1], 0, v[2:3]
	v_not_b32_e32 v3, v3
	v_ashrrev_i32_e32 v3, 31, v3
	v_and_b32_e32 v8, v8, v9
	;; [unrolled: 8-line block ×5, first 2 shown]
	v_xor_b32_e32 v3, s1, v2
	v_xor_b32_e32 v9, s0, v2
	v_and_b32_e32 v2, v8, v3
	v_and_b32_e32 v3, v7, v9
	v_mbcnt_lo_u32_b32 v7, v3, 0
	v_mbcnt_hi_u32_b32 v7, v2, v7
	v_cmp_eq_u32_e64 s[0:1], 0, v7
	s_and_saveexec_b64 s[4:5], s[0:1]
; %bb.7:
	v_bcnt_u32_b32 v3, v3, 0
	v_lshlrev_b32_e32 v6, 2, v6
	v_bcnt_u32_b32 v2, v2, v3
	ds_add_u32 v6, v2
; %bb.8:
	s_or_b64 exec, exec, s[4:5]
	v_and_b32_e32 v3, 1, v5
	v_add_co_u32_e64 v6, s[0:1], -1, v3
	v_addc_co_u32_e64 v7, s[0:1], 0, -1, s[0:1]
	v_cmp_ne_u32_e64 s[0:1], 0, v3
	v_xor_b32_e32 v3, s1, v7
	v_mov_b32_e32 v2, 0
	v_and_b32_e32 v7, exec_hi, v3
	v_lshlrev_b32_e32 v3, 30, v5
	v_xor_b32_e32 v6, s0, v6
	v_cmp_gt_i64_e64 s[0:1], 0, v[2:3]
	v_not_b32_e32 v3, v3
	v_ashrrev_i32_e32 v3, 31, v3
	v_and_b32_e32 v6, exec_lo, v6
	v_xor_b32_e32 v8, s1, v3
	v_xor_b32_e32 v3, s0, v3
	v_and_b32_e32 v6, v6, v3
	v_lshlrev_b32_e32 v3, 29, v5
	v_cmp_gt_i64_e64 s[0:1], 0, v[2:3]
	v_not_b32_e32 v3, v3
	v_ashrrev_i32_e32 v3, 31, v3
	v_and_b32_e32 v7, v7, v8
	v_xor_b32_e32 v8, s1, v3
	v_xor_b32_e32 v3, s0, v3
	v_and_b32_e32 v6, v6, v3
	v_lshlrev_b32_e32 v3, 28, v5
	v_cmp_gt_i64_e64 s[0:1], 0, v[2:3]
	v_not_b32_e32 v3, v3
	v_ashrrev_i32_e32 v3, 31, v3
	v_and_b32_e32 v7, v7, v8
	v_xor_b32_e32 v8, s1, v3
	v_xor_b32_e32 v3, s0, v3
	v_and_b32_e32 v6, v6, v3
	v_lshlrev_b32_e32 v3, 27, v5
	v_cmp_gt_i64_e64 s[0:1], 0, v[2:3]
	v_not_b32_e32 v3, v3
	v_ashrrev_i32_e32 v3, 31, v3
	v_and_b32_e32 v7, v7, v8
	v_xor_b32_e32 v8, s1, v3
	v_xor_b32_e32 v3, s0, v3
	v_and_b32_e32 v6, v6, v3
	v_lshlrev_b32_e32 v3, 26, v5
	v_cmp_gt_i64_e64 s[0:1], 0, v[2:3]
	v_not_b32_e32 v3, v3
	v_ashrrev_i32_e32 v3, 31, v3
	v_and_b32_e32 v7, v7, v8
	v_xor_b32_e32 v8, s1, v3
	v_xor_b32_e32 v3, s0, v3
	v_and_b32_e32 v6, v6, v3
	v_lshlrev_b32_e32 v3, 25, v5
	v_cmp_gt_i64_e64 s[0:1], 0, v[2:3]
	v_not_b32_e32 v3, v3
	v_ashrrev_i32_e32 v3, 31, v3
	v_xor_b32_e32 v9, s0, v3
	v_and_b32_e32 v7, v7, v8
	v_xor_b32_e32 v8, s1, v3
	v_and_b32_e32 v6, v6, v9
	v_and_b32_e32 v3, v7, v8
	v_mbcnt_lo_u32_b32 v7, v6, 0
	v_mbcnt_hi_u32_b32 v7, v3, v7
	v_cmp_eq_u32_e64 s[0:1], 0, v7
	s_and_saveexec_b64 s[4:5], s[0:1]
; %bb.9:
	v_bcnt_u32_b32 v6, v6, 0
	v_lshlrev_b32_e32 v5, 2, v5
	v_bcnt_u32_b32 v3, v3, v6
	ds_add_u32 v5, v3
; %bb.10:
	s_or_b64 exec, exec, s[4:5]
	v_and_b32_e32 v3, 1, v4
	v_add_co_u32_e64 v5, s[0:1], -1, v3
	v_addc_co_u32_e64 v6, s[0:1], 0, -1, s[0:1]
	v_cmp_ne_u32_e64 s[0:1], 0, v3
	v_xor_b32_e32 v3, s1, v6
	v_and_b32_e32 v6, exec_hi, v3
	v_lshlrev_b32_e32 v3, 30, v4
	v_xor_b32_e32 v5, s0, v5
	v_cmp_gt_i64_e64 s[0:1], 0, v[2:3]
	v_not_b32_e32 v3, v3
	v_ashrrev_i32_e32 v3, 31, v3
	v_and_b32_e32 v5, exec_lo, v5
	v_xor_b32_e32 v7, s1, v3
	v_xor_b32_e32 v3, s0, v3
	v_and_b32_e32 v5, v5, v3
	v_lshlrev_b32_e32 v3, 29, v4
	v_cmp_gt_i64_e64 s[0:1], 0, v[2:3]
	v_not_b32_e32 v3, v3
	v_ashrrev_i32_e32 v3, 31, v3
	v_and_b32_e32 v6, v6, v7
	v_xor_b32_e32 v7, s1, v3
	v_xor_b32_e32 v3, s0, v3
	v_and_b32_e32 v5, v5, v3
	v_lshlrev_b32_e32 v3, 28, v4
	v_cmp_gt_i64_e64 s[0:1], 0, v[2:3]
	v_not_b32_e32 v3, v3
	v_ashrrev_i32_e32 v3, 31, v3
	v_and_b32_e32 v6, v6, v7
	;; [unrolled: 8-line block ×5, first 2 shown]
	v_xor_b32_e32 v3, s1, v2
	v_xor_b32_e32 v7, s0, v2
	v_and_b32_e32 v2, v6, v3
	v_and_b32_e32 v3, v5, v7
	v_mbcnt_lo_u32_b32 v5, v3, 0
	v_mbcnt_hi_u32_b32 v5, v2, v5
	v_cmp_eq_u32_e64 s[0:1], 0, v5
	s_and_saveexec_b64 s[4:5], s[0:1]
; %bb.11:
	v_bcnt_u32_b32 v3, v3, 0
	v_lshlrev_b32_e32 v4, 2, v4
	v_bcnt_u32_b32 v2, v2, v3
	ds_add_u32 v4, v2
; %bb.12:
	s_or_b64 exec, exec, s[4:5]
	s_waitcnt lgkmcnt(0)
	s_barrier
	s_barrier
	s_and_saveexec_b64 s[0:1], vcc
	s_cbranch_execz .LBB21_14
; %bb.13:
	v_mov_b32_e32 v2, 0
	ds_read_b32 v4, v0
	v_lshlrev_b64 v[1:2], 2, v[1:2]
	v_mov_b32_e32 v3, s3
	v_add_co_u32_e32 v0, vcc, s2, v1
	v_addc_co_u32_e32 v1, vcc, v3, v2, vcc
	s_waitcnt lgkmcnt(0)
	global_store_dword v[0:1], v4, off
.LBB21_14:
	s_endpgm
	.section	.rodata,"a",@progbits
	.p2align	6, 0x0
	.amdhsa_kernel _Z16histogram_kernelILj65ELj5ELj65ELN6hipcub23BlockHistogramAlgorithmE0EjEvPT3_S3_
		.amdhsa_group_segment_fixed_size 260
		.amdhsa_private_segment_fixed_size 0
		.amdhsa_kernarg_size 16
		.amdhsa_user_sgpr_count 6
		.amdhsa_user_sgpr_private_segment_buffer 1
		.amdhsa_user_sgpr_dispatch_ptr 0
		.amdhsa_user_sgpr_queue_ptr 0
		.amdhsa_user_sgpr_kernarg_segment_ptr 1
		.amdhsa_user_sgpr_dispatch_id 0
		.amdhsa_user_sgpr_flat_scratch_init 0
		.amdhsa_user_sgpr_private_segment_size 0
		.amdhsa_uses_dynamic_stack 0
		.amdhsa_system_sgpr_private_segment_wavefront_offset 0
		.amdhsa_system_sgpr_workgroup_id_x 1
		.amdhsa_system_sgpr_workgroup_id_y 0
		.amdhsa_system_sgpr_workgroup_id_z 0
		.amdhsa_system_sgpr_workgroup_info 0
		.amdhsa_system_vgpr_workitem_id 0
		.amdhsa_next_free_vgpr 19
		.amdhsa_next_free_sgpr 7
		.amdhsa_reserve_vcc 1
		.amdhsa_reserve_flat_scratch 0
		.amdhsa_float_round_mode_32 0
		.amdhsa_float_round_mode_16_64 0
		.amdhsa_float_denorm_mode_32 3
		.amdhsa_float_denorm_mode_16_64 3
		.amdhsa_dx10_clamp 1
		.amdhsa_ieee_mode 1
		.amdhsa_fp16_overflow 0
		.amdhsa_exception_fp_ieee_invalid_op 0
		.amdhsa_exception_fp_denorm_src 0
		.amdhsa_exception_fp_ieee_div_zero 0
		.amdhsa_exception_fp_ieee_overflow 0
		.amdhsa_exception_fp_ieee_underflow 0
		.amdhsa_exception_fp_ieee_inexact 0
		.amdhsa_exception_int_div_zero 0
	.end_amdhsa_kernel
	.section	.text._Z16histogram_kernelILj65ELj5ELj65ELN6hipcub23BlockHistogramAlgorithmE0EjEvPT3_S3_,"axG",@progbits,_Z16histogram_kernelILj65ELj5ELj65ELN6hipcub23BlockHistogramAlgorithmE0EjEvPT3_S3_,comdat
.Lfunc_end21:
	.size	_Z16histogram_kernelILj65ELj5ELj65ELN6hipcub23BlockHistogramAlgorithmE0EjEvPT3_S3_, .Lfunc_end21-_Z16histogram_kernelILj65ELj5ELj65ELN6hipcub23BlockHistogramAlgorithmE0EjEvPT3_S3_
                                        ; -- End function
	.set _Z16histogram_kernelILj65ELj5ELj65ELN6hipcub23BlockHistogramAlgorithmE0EjEvPT3_S3_.num_vgpr, 19
	.set _Z16histogram_kernelILj65ELj5ELj65ELN6hipcub23BlockHistogramAlgorithmE0EjEvPT3_S3_.num_agpr, 0
	.set _Z16histogram_kernelILj65ELj5ELj65ELN6hipcub23BlockHistogramAlgorithmE0EjEvPT3_S3_.numbered_sgpr, 7
	.set _Z16histogram_kernelILj65ELj5ELj65ELN6hipcub23BlockHistogramAlgorithmE0EjEvPT3_S3_.num_named_barrier, 0
	.set _Z16histogram_kernelILj65ELj5ELj65ELN6hipcub23BlockHistogramAlgorithmE0EjEvPT3_S3_.private_seg_size, 0
	.set _Z16histogram_kernelILj65ELj5ELj65ELN6hipcub23BlockHistogramAlgorithmE0EjEvPT3_S3_.uses_vcc, 1
	.set _Z16histogram_kernelILj65ELj5ELj65ELN6hipcub23BlockHistogramAlgorithmE0EjEvPT3_S3_.uses_flat_scratch, 0
	.set _Z16histogram_kernelILj65ELj5ELj65ELN6hipcub23BlockHistogramAlgorithmE0EjEvPT3_S3_.has_dyn_sized_stack, 0
	.set _Z16histogram_kernelILj65ELj5ELj65ELN6hipcub23BlockHistogramAlgorithmE0EjEvPT3_S3_.has_recursion, 0
	.set _Z16histogram_kernelILj65ELj5ELj65ELN6hipcub23BlockHistogramAlgorithmE0EjEvPT3_S3_.has_indirect_call, 0
	.section	.AMDGPU.csdata,"",@progbits
; Kernel info:
; codeLenInByte = 1912
; TotalNumSgprs: 11
; NumVgprs: 19
; ScratchSize: 0
; MemoryBound: 0
; FloatMode: 240
; IeeeMode: 1
; LDSByteSize: 260 bytes/workgroup (compile time only)
; SGPRBlocks: 1
; VGPRBlocks: 4
; NumSGPRsForWavesPerEU: 11
; NumVGPRsForWavesPerEU: 19
; Occupancy: 10
; WaveLimiterHint : 0
; COMPUTE_PGM_RSRC2:SCRATCH_EN: 0
; COMPUTE_PGM_RSRC2:USER_SGPR: 6
; COMPUTE_PGM_RSRC2:TRAP_HANDLER: 0
; COMPUTE_PGM_RSRC2:TGID_X_EN: 1
; COMPUTE_PGM_RSRC2:TGID_Y_EN: 0
; COMPUTE_PGM_RSRC2:TGID_Z_EN: 0
; COMPUTE_PGM_RSRC2:TIDIG_COMP_CNT: 0
	.section	.text._Z16histogram_kernelILj37ELj2ELj37ELN6hipcub23BlockHistogramAlgorithmE0EjEvPT3_S3_,"axG",@progbits,_Z16histogram_kernelILj37ELj2ELj37ELN6hipcub23BlockHistogramAlgorithmE0EjEvPT3_S3_,comdat
	.protected	_Z16histogram_kernelILj37ELj2ELj37ELN6hipcub23BlockHistogramAlgorithmE0EjEvPT3_S3_ ; -- Begin function _Z16histogram_kernelILj37ELj2ELj37ELN6hipcub23BlockHistogramAlgorithmE0EjEvPT3_S3_
	.globl	_Z16histogram_kernelILj37ELj2ELj37ELN6hipcub23BlockHistogramAlgorithmE0EjEvPT3_S3_
	.p2align	8
	.type	_Z16histogram_kernelILj37ELj2ELj37ELN6hipcub23BlockHistogramAlgorithmE0EjEvPT3_S3_,@function
_Z16histogram_kernelILj37ELj2ELj37ELN6hipcub23BlockHistogramAlgorithmE0EjEvPT3_S3_: ; @_Z16histogram_kernelILj37ELj2ELj37ELN6hipcub23BlockHistogramAlgorithmE0EjEvPT3_S3_
; %bb.0:
	v_mad_u64_u32 v[1:2], s[0:1], s6, 37, v[0:1]
	s_load_dwordx4 s[0:3], s[4:5], 0x0
	v_mov_b32_e32 v4, 0
	v_lshlrev_b32_e32 v2, 1, v1
	v_mov_b32_e32 v3, v4
	v_lshlrev_b64 v[2:3], 2, v[2:3]
	s_waitcnt lgkmcnt(0)
	v_mov_b32_e32 v5, s1
	v_add_co_u32_e32 v2, vcc, s0, v2
	v_addc_co_u32_e32 v3, vcc, v5, v3, vcc
	global_load_dwordx2 v[2:3], v[2:3], off
	v_cmp_gt_u32_e32 vcc, 37, v0
	v_lshlrev_b32_e32 v0, 2, v0
	s_and_saveexec_b64 s[0:1], vcc
; %bb.1:
	ds_write_b32 v0, v4
; %bb.2:
	s_or_b64 exec, exec, s[0:1]
	s_waitcnt vmcnt(0)
	v_and_b32_e32 v5, 1, v2
	v_add_co_u32_e64 v6, s[0:1], -1, v5
	v_addc_co_u32_e64 v7, s[0:1], 0, -1, s[0:1]
	v_cmp_ne_u32_e64 s[0:1], 0, v5
	v_xor_b32_e32 v5, s1, v7
	v_and_b32_e32 v7, exec_hi, v5
	v_lshlrev_b32_e32 v5, 30, v2
	v_xor_b32_e32 v6, s0, v6
	v_cmp_gt_i64_e64 s[0:1], 0, v[4:5]
	v_not_b32_e32 v5, v5
	v_ashrrev_i32_e32 v5, 31, v5
	v_and_b32_e32 v6, exec_lo, v6
	v_xor_b32_e32 v8, s1, v5
	v_xor_b32_e32 v5, s0, v5
	v_and_b32_e32 v6, v6, v5
	v_lshlrev_b32_e32 v5, 29, v2
	v_cmp_gt_i64_e64 s[0:1], 0, v[4:5]
	v_not_b32_e32 v5, v5
	v_ashrrev_i32_e32 v5, 31, v5
	v_and_b32_e32 v7, v7, v8
	v_xor_b32_e32 v8, s1, v5
	v_xor_b32_e32 v5, s0, v5
	v_and_b32_e32 v6, v6, v5
	v_lshlrev_b32_e32 v5, 28, v2
	v_cmp_gt_i64_e64 s[0:1], 0, v[4:5]
	v_not_b32_e32 v5, v5
	v_ashrrev_i32_e32 v5, 31, v5
	v_and_b32_e32 v7, v7, v8
	;; [unrolled: 8-line block ×4, first 2 shown]
	v_xor_b32_e32 v5, s1, v4
	v_xor_b32_e32 v8, s0, v4
	v_and_b32_e32 v4, v7, v5
	v_and_b32_e32 v5, v6, v8
	v_mbcnt_lo_u32_b32 v6, v5, 0
	v_mbcnt_hi_u32_b32 v6, v4, v6
	v_cmp_eq_u32_e64 s[0:1], 0, v6
	s_waitcnt lgkmcnt(0)
	; wave barrier
	s_and_saveexec_b64 s[4:5], s[0:1]
; %bb.3:
	v_bcnt_u32_b32 v5, v5, 0
	v_lshlrev_b32_e32 v2, 2, v2
	v_bcnt_u32_b32 v4, v4, v5
	ds_add_u32 v2, v4
; %bb.4:
	s_or_b64 exec, exec, s[4:5]
	v_and_b32_e32 v2, 1, v3
	v_add_co_u32_e64 v5, s[0:1], -1, v2
	v_addc_co_u32_e64 v6, s[0:1], 0, -1, s[0:1]
	v_cmp_ne_u32_e64 s[0:1], 0, v2
	v_xor_b32_e32 v5, s0, v5
	v_mov_b32_e32 v4, 0
	v_xor_b32_e32 v2, s1, v6
	v_and_b32_e32 v6, exec_lo, v5
	v_lshlrev_b32_e32 v5, 30, v3
	v_cmp_gt_i64_e64 s[0:1], 0, v[4:5]
	v_not_b32_e32 v5, v5
	v_ashrrev_i32_e32 v5, 31, v5
	v_xor_b32_e32 v7, s1, v5
	v_xor_b32_e32 v5, s0, v5
	v_and_b32_e32 v6, v6, v5
	v_lshlrev_b32_e32 v5, 29, v3
	v_cmp_gt_i64_e64 s[0:1], 0, v[4:5]
	v_not_b32_e32 v5, v5
	v_and_b32_e32 v2, exec_hi, v2
	v_ashrrev_i32_e32 v5, 31, v5
	v_and_b32_e32 v2, v2, v7
	v_xor_b32_e32 v7, s1, v5
	v_xor_b32_e32 v5, s0, v5
	v_and_b32_e32 v6, v6, v5
	v_lshlrev_b32_e32 v5, 28, v3
	v_cmp_gt_i64_e64 s[0:1], 0, v[4:5]
	v_not_b32_e32 v5, v5
	v_ashrrev_i32_e32 v5, 31, v5
	v_and_b32_e32 v2, v2, v7
	v_xor_b32_e32 v7, s1, v5
	v_xor_b32_e32 v5, s0, v5
	v_and_b32_e32 v6, v6, v5
	v_lshlrev_b32_e32 v5, 27, v3
	v_cmp_gt_i64_e64 s[0:1], 0, v[4:5]
	v_not_b32_e32 v5, v5
	;; [unrolled: 8-line block ×3, first 2 shown]
	v_ashrrev_i32_e32 v4, 31, v4
	v_xor_b32_e32 v5, s1, v4
	v_xor_b32_e32 v4, s0, v4
	v_and_b32_e32 v2, v2, v7
	v_and_b32_e32 v4, v6, v4
	;; [unrolled: 1-line block ×3, first 2 shown]
	v_mbcnt_lo_u32_b32 v5, v4, 0
	v_mbcnt_hi_u32_b32 v5, v2, v5
	v_cmp_eq_u32_e64 s[0:1], 0, v5
	s_and_saveexec_b64 s[4:5], s[0:1]
; %bb.5:
	v_bcnt_u32_b32 v4, v4, 0
	v_lshlrev_b32_e32 v3, 2, v3
	v_bcnt_u32_b32 v2, v2, v4
	ds_add_u32 v3, v2
; %bb.6:
	s_or_b64 exec, exec, s[4:5]
	s_waitcnt lgkmcnt(0)
	; wave barrier
	; wave barrier
	s_and_saveexec_b64 s[0:1], vcc
	s_cbranch_execz .LBB22_8
; %bb.7:
	v_mov_b32_e32 v2, 0
	ds_read_b32 v4, v0
	v_lshlrev_b64 v[1:2], 2, v[1:2]
	v_mov_b32_e32 v3, s3
	v_add_co_u32_e32 v0, vcc, s2, v1
	v_addc_co_u32_e32 v1, vcc, v3, v2, vcc
	s_waitcnt lgkmcnt(0)
	global_store_dword v[0:1], v4, off
.LBB22_8:
	s_endpgm
	.section	.rodata,"a",@progbits
	.p2align	6, 0x0
	.amdhsa_kernel _Z16histogram_kernelILj37ELj2ELj37ELN6hipcub23BlockHistogramAlgorithmE0EjEvPT3_S3_
		.amdhsa_group_segment_fixed_size 148
		.amdhsa_private_segment_fixed_size 0
		.amdhsa_kernarg_size 16
		.amdhsa_user_sgpr_count 6
		.amdhsa_user_sgpr_private_segment_buffer 1
		.amdhsa_user_sgpr_dispatch_ptr 0
		.amdhsa_user_sgpr_queue_ptr 0
		.amdhsa_user_sgpr_kernarg_segment_ptr 1
		.amdhsa_user_sgpr_dispatch_id 0
		.amdhsa_user_sgpr_flat_scratch_init 0
		.amdhsa_user_sgpr_private_segment_size 0
		.amdhsa_uses_dynamic_stack 0
		.amdhsa_system_sgpr_private_segment_wavefront_offset 0
		.amdhsa_system_sgpr_workgroup_id_x 1
		.amdhsa_system_sgpr_workgroup_id_y 0
		.amdhsa_system_sgpr_workgroup_id_z 0
		.amdhsa_system_sgpr_workgroup_info 0
		.amdhsa_system_vgpr_workitem_id 0
		.amdhsa_next_free_vgpr 9
		.amdhsa_next_free_sgpr 7
		.amdhsa_reserve_vcc 1
		.amdhsa_reserve_flat_scratch 0
		.amdhsa_float_round_mode_32 0
		.amdhsa_float_round_mode_16_64 0
		.amdhsa_float_denorm_mode_32 3
		.amdhsa_float_denorm_mode_16_64 3
		.amdhsa_dx10_clamp 1
		.amdhsa_ieee_mode 1
		.amdhsa_fp16_overflow 0
		.amdhsa_exception_fp_ieee_invalid_op 0
		.amdhsa_exception_fp_denorm_src 0
		.amdhsa_exception_fp_ieee_div_zero 0
		.amdhsa_exception_fp_ieee_overflow 0
		.amdhsa_exception_fp_ieee_underflow 0
		.amdhsa_exception_fp_ieee_inexact 0
		.amdhsa_exception_int_div_zero 0
	.end_amdhsa_kernel
	.section	.text._Z16histogram_kernelILj37ELj2ELj37ELN6hipcub23BlockHistogramAlgorithmE0EjEvPT3_S3_,"axG",@progbits,_Z16histogram_kernelILj37ELj2ELj37ELN6hipcub23BlockHistogramAlgorithmE0EjEvPT3_S3_,comdat
.Lfunc_end22:
	.size	_Z16histogram_kernelILj37ELj2ELj37ELN6hipcub23BlockHistogramAlgorithmE0EjEvPT3_S3_, .Lfunc_end22-_Z16histogram_kernelILj37ELj2ELj37ELN6hipcub23BlockHistogramAlgorithmE0EjEvPT3_S3_
                                        ; -- End function
	.set _Z16histogram_kernelILj37ELj2ELj37ELN6hipcub23BlockHistogramAlgorithmE0EjEvPT3_S3_.num_vgpr, 9
	.set _Z16histogram_kernelILj37ELj2ELj37ELN6hipcub23BlockHistogramAlgorithmE0EjEvPT3_S3_.num_agpr, 0
	.set _Z16histogram_kernelILj37ELj2ELj37ELN6hipcub23BlockHistogramAlgorithmE0EjEvPT3_S3_.numbered_sgpr, 7
	.set _Z16histogram_kernelILj37ELj2ELj37ELN6hipcub23BlockHistogramAlgorithmE0EjEvPT3_S3_.num_named_barrier, 0
	.set _Z16histogram_kernelILj37ELj2ELj37ELN6hipcub23BlockHistogramAlgorithmE0EjEvPT3_S3_.private_seg_size, 0
	.set _Z16histogram_kernelILj37ELj2ELj37ELN6hipcub23BlockHistogramAlgorithmE0EjEvPT3_S3_.uses_vcc, 1
	.set _Z16histogram_kernelILj37ELj2ELj37ELN6hipcub23BlockHistogramAlgorithmE0EjEvPT3_S3_.uses_flat_scratch, 0
	.set _Z16histogram_kernelILj37ELj2ELj37ELN6hipcub23BlockHistogramAlgorithmE0EjEvPT3_S3_.has_dyn_sized_stack, 0
	.set _Z16histogram_kernelILj37ELj2ELj37ELN6hipcub23BlockHistogramAlgorithmE0EjEvPT3_S3_.has_recursion, 0
	.set _Z16histogram_kernelILj37ELj2ELj37ELN6hipcub23BlockHistogramAlgorithmE0EjEvPT3_S3_.has_indirect_call, 0
	.section	.AMDGPU.csdata,"",@progbits
; Kernel info:
; codeLenInByte = 724
; TotalNumSgprs: 11
; NumVgprs: 9
; ScratchSize: 0
; MemoryBound: 0
; FloatMode: 240
; IeeeMode: 1
; LDSByteSize: 148 bytes/workgroup (compile time only)
; SGPRBlocks: 1
; VGPRBlocks: 2
; NumSGPRsForWavesPerEU: 11
; NumVGPRsForWavesPerEU: 9
; Occupancy: 10
; WaveLimiterHint : 0
; COMPUTE_PGM_RSRC2:SCRATCH_EN: 0
; COMPUTE_PGM_RSRC2:USER_SGPR: 6
; COMPUTE_PGM_RSRC2:TRAP_HANDLER: 0
; COMPUTE_PGM_RSRC2:TGID_X_EN: 1
; COMPUTE_PGM_RSRC2:TGID_Y_EN: 0
; COMPUTE_PGM_RSRC2:TGID_Z_EN: 0
; COMPUTE_PGM_RSRC2:TIDIG_COMP_CNT: 0
	.section	.text._Z16histogram_kernelILj1024ELj1ELj1024ELN6hipcub23BlockHistogramAlgorithmE0EjEvPT3_S3_,"axG",@progbits,_Z16histogram_kernelILj1024ELj1ELj1024ELN6hipcub23BlockHistogramAlgorithmE0EjEvPT3_S3_,comdat
	.protected	_Z16histogram_kernelILj1024ELj1ELj1024ELN6hipcub23BlockHistogramAlgorithmE0EjEvPT3_S3_ ; -- Begin function _Z16histogram_kernelILj1024ELj1ELj1024ELN6hipcub23BlockHistogramAlgorithmE0EjEvPT3_S3_
	.globl	_Z16histogram_kernelILj1024ELj1ELj1024ELN6hipcub23BlockHistogramAlgorithmE0EjEvPT3_S3_
	.p2align	8
	.type	_Z16histogram_kernelILj1024ELj1ELj1024ELN6hipcub23BlockHistogramAlgorithmE0EjEvPT3_S3_,@function
_Z16histogram_kernelILj1024ELj1ELj1024ELN6hipcub23BlockHistogramAlgorithmE0EjEvPT3_S3_: ; @_Z16histogram_kernelILj1024ELj1ELj1024ELN6hipcub23BlockHistogramAlgorithmE0EjEvPT3_S3_
; %bb.0:
	s_load_dwordx4 s[16:19], s[4:5], 0x0
	v_lshl_or_b32 v2, s6, 10, v0
	v_mov_b32_e32 v3, 0
	v_lshlrev_b64 v[1:2], 2, v[2:3]
	v_mov_b32_e32 v7, v3
	s_waitcnt lgkmcnt(0)
	v_mov_b32_e32 v5, s17
	v_add_co_u32_e32 v4, vcc, s16, v1
	v_addc_co_u32_e32 v5, vcc, v5, v2, vcc
	global_load_dword v4, v[4:5], off
	v_mov_b32_e32 v5, v3
	v_mov_b32_e32 v9, v3
	;; [unrolled: 1-line block ×7, first 2 shown]
	v_lshlrev_b32_e32 v0, 2, v0
	ds_write_b32 v0, v3
	s_waitcnt vmcnt(0) lgkmcnt(0)
	s_barrier
	v_and_b32_e32 v21, 1, v4
	v_add_co_u32_e32 v22, vcc, -1, v21
	v_lshlrev_b32_e32 v6, 30, v4
	v_addc_co_u32_e64 v23, s[0:1], 0, -1, vcc
	v_lshlrev_b32_e32 v8, 29, v4
	v_lshlrev_b32_e32 v10, 28, v4
	;; [unrolled: 1-line block ×3, first 2 shown]
	v_cmp_ne_u32_e32 vcc, 0, v21
	v_cmp_gt_i64_e64 s[0:1], 0, v[5:6]
	v_not_b32_e32 v5, v6
	v_lshlrev_b32_e32 v16, 25, v4
	v_cmp_gt_i64_e64 s[2:3], 0, v[7:8]
	v_not_b32_e32 v6, v8
	v_cmp_gt_i64_e64 s[4:5], 0, v[9:10]
	v_cmp_gt_i64_e64 s[8:9], 0, v[13:14]
	v_not_b32_e32 v9, v14
	v_xor_b32_e32 v13, vcc_hi, v23
	v_xor_b32_e32 v14, vcc_lo, v22
	v_ashrrev_i32_e32 v5, 31, v5
	v_lshlrev_b32_e32 v12, 27, v4
	v_not_b32_e32 v7, v10
	v_cmp_gt_i64_e64 s[10:11], 0, v[15:16]
	v_ashrrev_i32_e32 v6, 31, v6
	v_and_b32_e32 v13, exec_hi, v13
	v_and_b32_e32 v14, exec_lo, v14
	v_xor_b32_e32 v15, s1, v5
	v_xor_b32_e32 v5, s0, v5
	v_lshlrev_b32_e32 v18, 24, v4
	v_cmp_gt_i64_e64 s[6:7], 0, v[11:12]
	v_not_b32_e32 v8, v12
	v_not_b32_e32 v10, v16
	v_ashrrev_i32_e32 v7, 31, v7
	v_xor_b32_e32 v16, s3, v6
	v_xor_b32_e32 v6, s2, v6
	v_and_b32_e32 v13, v13, v15
	v_and_b32_e32 v5, v14, v5
	v_cmp_gt_i64_e64 s[12:13], 0, v[17:18]
	v_ashrrev_i32_e32 v8, 31, v8
	v_xor_b32_e32 v17, s5, v7
	v_xor_b32_e32 v7, s4, v7
	v_and_b32_e32 v13, v13, v16
	v_and_b32_e32 v5, v5, v6
	v_lshlrev_b32_e32 v20, 23, v4
	v_not_b32_e32 v11, v18
	v_ashrrev_i32_e32 v9, 31, v9
	v_xor_b32_e32 v18, s7, v8
	v_xor_b32_e32 v8, s6, v8
	v_and_b32_e32 v6, v13, v17
	v_and_b32_e32 v5, v5, v7
	v_cmp_gt_i64_e64 s[14:15], 0, v[19:20]
	v_ashrrev_i32_e32 v10, 31, v10
	v_xor_b32_e32 v19, s9, v9
	v_xor_b32_e32 v9, s8, v9
	v_and_b32_e32 v6, v6, v18
	v_and_b32_e32 v5, v5, v8
	v_not_b32_e32 v12, v20
	v_ashrrev_i32_e32 v11, 31, v11
	v_xor_b32_e32 v20, s11, v10
	v_xor_b32_e32 v10, s10, v10
	v_and_b32_e32 v6, v6, v19
	v_and_b32_e32 v5, v5, v9
	v_ashrrev_i32_e32 v12, 31, v12
	v_xor_b32_e32 v21, s13, v11
	v_xor_b32_e32 v11, s12, v11
	v_and_b32_e32 v6, v6, v20
	v_and_b32_e32 v5, v5, v10
	v_xor_b32_e32 v22, s15, v12
	v_xor_b32_e32 v12, s14, v12
	v_and_b32_e32 v6, v6, v21
	v_and_b32_e32 v5, v5, v11
	;; [unrolled: 1-line block ×4, first 2 shown]
	v_lshlrev_b32_e32 v6, 22, v4
	v_mov_b32_e32 v5, v3
	v_cmp_gt_i64_e32 vcc, 0, v[5:6]
	v_not_b32_e32 v3, v6
	v_ashrrev_i32_e32 v3, 31, v3
	v_xor_b32_e32 v5, vcc_hi, v3
	v_xor_b32_e32 v6, vcc_lo, v3
	v_and_b32_e32 v3, v7, v5
	v_and_b32_e32 v5, v8, v6
	v_mbcnt_lo_u32_b32 v6, v5, 0
	v_mbcnt_hi_u32_b32 v6, v3, v6
	v_cmp_eq_u32_e32 vcc, 0, v6
	s_and_saveexec_b64 s[0:1], vcc
; %bb.1:
	v_bcnt_u32_b32 v5, v5, 0
	v_lshlrev_b32_e32 v4, 2, v4
	v_bcnt_u32_b32 v3, v3, v5
	ds_add_u32 v4, v3
; %bb.2:
	s_or_b64 exec, exec, s[0:1]
	s_waitcnt lgkmcnt(0)
	s_barrier
	s_barrier
	ds_read_b32 v3, v0
	v_mov_b32_e32 v4, s19
	v_add_co_u32_e32 v0, vcc, s18, v1
	v_addc_co_u32_e32 v1, vcc, v4, v2, vcc
	s_waitcnt lgkmcnt(0)
	global_store_dword v[0:1], v3, off
	s_endpgm
	.section	.rodata,"a",@progbits
	.p2align	6, 0x0
	.amdhsa_kernel _Z16histogram_kernelILj1024ELj1ELj1024ELN6hipcub23BlockHistogramAlgorithmE0EjEvPT3_S3_
		.amdhsa_group_segment_fixed_size 4096
		.amdhsa_private_segment_fixed_size 0
		.amdhsa_kernarg_size 16
		.amdhsa_user_sgpr_count 6
		.amdhsa_user_sgpr_private_segment_buffer 1
		.amdhsa_user_sgpr_dispatch_ptr 0
		.amdhsa_user_sgpr_queue_ptr 0
		.amdhsa_user_sgpr_kernarg_segment_ptr 1
		.amdhsa_user_sgpr_dispatch_id 0
		.amdhsa_user_sgpr_flat_scratch_init 0
		.amdhsa_user_sgpr_private_segment_size 0
		.amdhsa_uses_dynamic_stack 0
		.amdhsa_system_sgpr_private_segment_wavefront_offset 0
		.amdhsa_system_sgpr_workgroup_id_x 1
		.amdhsa_system_sgpr_workgroup_id_y 0
		.amdhsa_system_sgpr_workgroup_id_z 0
		.amdhsa_system_sgpr_workgroup_info 0
		.amdhsa_system_vgpr_workitem_id 0
		.amdhsa_next_free_vgpr 29
		.amdhsa_next_free_sgpr 61
		.amdhsa_reserve_vcc 1
		.amdhsa_reserve_flat_scratch 0
		.amdhsa_float_round_mode_32 0
		.amdhsa_float_round_mode_16_64 0
		.amdhsa_float_denorm_mode_32 3
		.amdhsa_float_denorm_mode_16_64 3
		.amdhsa_dx10_clamp 1
		.amdhsa_ieee_mode 1
		.amdhsa_fp16_overflow 0
		.amdhsa_exception_fp_ieee_invalid_op 0
		.amdhsa_exception_fp_denorm_src 0
		.amdhsa_exception_fp_ieee_div_zero 0
		.amdhsa_exception_fp_ieee_overflow 0
		.amdhsa_exception_fp_ieee_underflow 0
		.amdhsa_exception_fp_ieee_inexact 0
		.amdhsa_exception_int_div_zero 0
	.end_amdhsa_kernel
	.section	.text._Z16histogram_kernelILj1024ELj1ELj1024ELN6hipcub23BlockHistogramAlgorithmE0EjEvPT3_S3_,"axG",@progbits,_Z16histogram_kernelILj1024ELj1ELj1024ELN6hipcub23BlockHistogramAlgorithmE0EjEvPT3_S3_,comdat
.Lfunc_end23:
	.size	_Z16histogram_kernelILj1024ELj1ELj1024ELN6hipcub23BlockHistogramAlgorithmE0EjEvPT3_S3_, .Lfunc_end23-_Z16histogram_kernelILj1024ELj1ELj1024ELN6hipcub23BlockHistogramAlgorithmE0EjEvPT3_S3_
                                        ; -- End function
	.set _Z16histogram_kernelILj1024ELj1ELj1024ELN6hipcub23BlockHistogramAlgorithmE0EjEvPT3_S3_.num_vgpr, 24
	.set _Z16histogram_kernelILj1024ELj1ELj1024ELN6hipcub23BlockHistogramAlgorithmE0EjEvPT3_S3_.num_agpr, 0
	.set _Z16histogram_kernelILj1024ELj1ELj1024ELN6hipcub23BlockHistogramAlgorithmE0EjEvPT3_S3_.numbered_sgpr, 20
	.set _Z16histogram_kernelILj1024ELj1ELj1024ELN6hipcub23BlockHistogramAlgorithmE0EjEvPT3_S3_.num_named_barrier, 0
	.set _Z16histogram_kernelILj1024ELj1ELj1024ELN6hipcub23BlockHistogramAlgorithmE0EjEvPT3_S3_.private_seg_size, 0
	.set _Z16histogram_kernelILj1024ELj1ELj1024ELN6hipcub23BlockHistogramAlgorithmE0EjEvPT3_S3_.uses_vcc, 1
	.set _Z16histogram_kernelILj1024ELj1ELj1024ELN6hipcub23BlockHistogramAlgorithmE0EjEvPT3_S3_.uses_flat_scratch, 0
	.set _Z16histogram_kernelILj1024ELj1ELj1024ELN6hipcub23BlockHistogramAlgorithmE0EjEvPT3_S3_.has_dyn_sized_stack, 0
	.set _Z16histogram_kernelILj1024ELj1ELj1024ELN6hipcub23BlockHistogramAlgorithmE0EjEvPT3_S3_.has_recursion, 0
	.set _Z16histogram_kernelILj1024ELj1ELj1024ELN6hipcub23BlockHistogramAlgorithmE0EjEvPT3_S3_.has_indirect_call, 0
	.section	.AMDGPU.csdata,"",@progbits
; Kernel info:
; codeLenInByte = 568
; TotalNumSgprs: 24
; NumVgprs: 24
; ScratchSize: 0
; MemoryBound: 0
; FloatMode: 240
; IeeeMode: 1
; LDSByteSize: 4096 bytes/workgroup (compile time only)
; SGPRBlocks: 8
; VGPRBlocks: 7
; NumSGPRsForWavesPerEU: 65
; NumVGPRsForWavesPerEU: 29
; Occupancy: 8
; WaveLimiterHint : 0
; COMPUTE_PGM_RSRC2:SCRATCH_EN: 0
; COMPUTE_PGM_RSRC2:USER_SGPR: 6
; COMPUTE_PGM_RSRC2:TRAP_HANDLER: 0
; COMPUTE_PGM_RSRC2:TGID_X_EN: 1
; COMPUTE_PGM_RSRC2:TGID_Y_EN: 0
; COMPUTE_PGM_RSRC2:TGID_Z_EN: 0
; COMPUTE_PGM_RSRC2:TIDIG_COMP_CNT: 0
	.section	.text._Z16histogram_kernelILj512ELj4ELj512ELN6hipcub23BlockHistogramAlgorithmE0EjEvPT3_S3_,"axG",@progbits,_Z16histogram_kernelILj512ELj4ELj512ELN6hipcub23BlockHistogramAlgorithmE0EjEvPT3_S3_,comdat
	.protected	_Z16histogram_kernelILj512ELj4ELj512ELN6hipcub23BlockHistogramAlgorithmE0EjEvPT3_S3_ ; -- Begin function _Z16histogram_kernelILj512ELj4ELj512ELN6hipcub23BlockHistogramAlgorithmE0EjEvPT3_S3_
	.globl	_Z16histogram_kernelILj512ELj4ELj512ELN6hipcub23BlockHistogramAlgorithmE0EjEvPT3_S3_
	.p2align	8
	.type	_Z16histogram_kernelILj512ELj4ELj512ELN6hipcub23BlockHistogramAlgorithmE0EjEvPT3_S3_,@function
_Z16histogram_kernelILj512ELj4ELj512ELN6hipcub23BlockHistogramAlgorithmE0EjEvPT3_S3_: ; @_Z16histogram_kernelILj512ELj4ELj512ELN6hipcub23BlockHistogramAlgorithmE0EjEvPT3_S3_
; %bb.0:
	s_load_dwordx4 s[0:3], s[4:5], 0x0
	v_lshlrev_b32_e32 v7, 2, v0
	v_mov_b32_e32 v5, 0
	v_lshl_or_b32 v1, s6, 11, v7
	v_mov_b32_e32 v2, v5
	v_lshlrev_b64 v[1:2], 2, v[1:2]
	s_waitcnt lgkmcnt(0)
	v_mov_b32_e32 v3, s1
	v_add_co_u32_e32 v1, vcc, s0, v1
	v_addc_co_u32_e32 v2, vcc, v3, v2, vcc
	global_load_dwordx4 v[1:4], v[1:2], off
	s_movk_i32 s0, 0x200
	v_cmp_gt_u32_e32 vcc, s0, v0
	s_and_saveexec_b64 s[0:1], vcc
; %bb.1:
	ds_write_b32 v7, v5
; %bb.2:
	s_or_b64 exec, exec, s[0:1]
	s_waitcnt vmcnt(0)
	v_and_b32_e32 v6, 1, v1
	v_add_co_u32_e64 v8, s[0:1], -1, v6
	v_addc_co_u32_e64 v9, s[0:1], 0, -1, s[0:1]
	v_cmp_ne_u32_e64 s[0:1], 0, v6
	v_xor_b32_e32 v6, s1, v9
	v_and_b32_e32 v9, exec_hi, v6
	v_lshlrev_b32_e32 v6, 30, v1
	v_xor_b32_e32 v8, s0, v8
	v_cmp_gt_i64_e64 s[0:1], 0, v[5:6]
	v_not_b32_e32 v6, v6
	v_ashrrev_i32_e32 v6, 31, v6
	v_and_b32_e32 v8, exec_lo, v8
	v_xor_b32_e32 v10, s1, v6
	v_xor_b32_e32 v6, s0, v6
	v_and_b32_e32 v8, v8, v6
	v_lshlrev_b32_e32 v6, 29, v1
	v_cmp_gt_i64_e64 s[0:1], 0, v[5:6]
	v_not_b32_e32 v6, v6
	v_ashrrev_i32_e32 v6, 31, v6
	v_and_b32_e32 v9, v9, v10
	v_xor_b32_e32 v10, s1, v6
	v_xor_b32_e32 v6, s0, v6
	v_and_b32_e32 v8, v8, v6
	v_lshlrev_b32_e32 v6, 28, v1
	v_cmp_gt_i64_e64 s[0:1], 0, v[5:6]
	v_not_b32_e32 v6, v6
	v_ashrrev_i32_e32 v6, 31, v6
	v_and_b32_e32 v9, v9, v10
	;; [unrolled: 8-line block ×7, first 2 shown]
	v_xor_b32_e32 v6, s1, v5
	v_xor_b32_e32 v10, s0, v5
	v_and_b32_e32 v5, v9, v6
	v_and_b32_e32 v6, v8, v10
	v_mbcnt_lo_u32_b32 v8, v6, 0
	v_mbcnt_hi_u32_b32 v8, v5, v8
	v_cmp_eq_u32_e64 s[0:1], 0, v8
	s_waitcnt lgkmcnt(0)
	s_barrier
	s_and_saveexec_b64 s[4:5], s[0:1]
; %bb.3:
	v_bcnt_u32_b32 v6, v6, 0
	v_lshlrev_b32_e32 v1, 2, v1
	v_bcnt_u32_b32 v5, v5, v6
	ds_add_u32 v1, v5
; %bb.4:
	s_or_b64 exec, exec, s[4:5]
	v_and_b32_e32 v1, 1, v2
	v_add_co_u32_e64 v6, s[0:1], -1, v1
	v_addc_co_u32_e64 v8, s[0:1], 0, -1, s[0:1]
	v_cmp_ne_u32_e64 s[0:1], 0, v1
	v_xor_b32_e32 v6, s0, v6
	v_mov_b32_e32 v5, 0
	v_xor_b32_e32 v1, s1, v8
	v_and_b32_e32 v8, exec_lo, v6
	v_lshlrev_b32_e32 v6, 30, v2
	v_cmp_gt_i64_e64 s[0:1], 0, v[5:6]
	v_not_b32_e32 v6, v6
	v_ashrrev_i32_e32 v6, 31, v6
	v_xor_b32_e32 v9, s1, v6
	v_xor_b32_e32 v6, s0, v6
	v_and_b32_e32 v8, v8, v6
	v_lshlrev_b32_e32 v6, 29, v2
	v_cmp_gt_i64_e64 s[0:1], 0, v[5:6]
	v_not_b32_e32 v6, v6
	v_and_b32_e32 v1, exec_hi, v1
	v_ashrrev_i32_e32 v6, 31, v6
	v_and_b32_e32 v1, v1, v9
	v_xor_b32_e32 v9, s1, v6
	v_xor_b32_e32 v6, s0, v6
	v_and_b32_e32 v8, v8, v6
	v_lshlrev_b32_e32 v6, 28, v2
	v_cmp_gt_i64_e64 s[0:1], 0, v[5:6]
	v_not_b32_e32 v6, v6
	v_ashrrev_i32_e32 v6, 31, v6
	v_and_b32_e32 v1, v1, v9
	v_xor_b32_e32 v9, s1, v6
	v_xor_b32_e32 v6, s0, v6
	v_and_b32_e32 v8, v8, v6
	v_lshlrev_b32_e32 v6, 27, v2
	v_cmp_gt_i64_e64 s[0:1], 0, v[5:6]
	v_not_b32_e32 v6, v6
	v_ashrrev_i32_e32 v6, 31, v6
	v_and_b32_e32 v1, v1, v9
	v_xor_b32_e32 v9, s1, v6
	v_xor_b32_e32 v6, s0, v6
	v_and_b32_e32 v8, v8, v6
	v_lshlrev_b32_e32 v6, 26, v2
	v_cmp_gt_i64_e64 s[0:1], 0, v[5:6]
	v_not_b32_e32 v6, v6
	v_ashrrev_i32_e32 v6, 31, v6
	v_and_b32_e32 v1, v1, v9
	v_xor_b32_e32 v9, s1, v6
	v_xor_b32_e32 v6, s0, v6
	v_and_b32_e32 v8, v8, v6
	v_lshlrev_b32_e32 v6, 25, v2
	v_cmp_gt_i64_e64 s[0:1], 0, v[5:6]
	v_not_b32_e32 v6, v6
	v_ashrrev_i32_e32 v6, 31, v6
	v_and_b32_e32 v1, v1, v9
	v_xor_b32_e32 v9, s1, v6
	v_xor_b32_e32 v6, s0, v6
	v_and_b32_e32 v8, v8, v6
	v_lshlrev_b32_e32 v6, 24, v2
	v_cmp_gt_i64_e64 s[0:1], 0, v[5:6]
	v_not_b32_e32 v6, v6
	v_ashrrev_i32_e32 v6, 31, v6
	v_and_b32_e32 v1, v1, v9
	v_xor_b32_e32 v9, s1, v6
	v_xor_b32_e32 v6, s0, v6
	v_and_b32_e32 v8, v8, v6
	v_lshlrev_b32_e32 v6, 23, v2
	v_cmp_gt_i64_e64 s[0:1], 0, v[5:6]
	v_not_b32_e32 v6, v6
	v_ashrrev_i32_e32 v6, 31, v6
	v_and_b32_e32 v1, v1, v9
	v_xor_b32_e32 v9, s1, v6
	v_xor_b32_e32 v6, s0, v6
	v_and_b32_e32 v6, v8, v6
	v_and_b32_e32 v1, v1, v9
	v_mbcnt_lo_u32_b32 v8, v6, 0
	v_mbcnt_hi_u32_b32 v8, v1, v8
	v_cmp_eq_u32_e64 s[0:1], 0, v8
	s_and_saveexec_b64 s[4:5], s[0:1]
; %bb.5:
	v_bcnt_u32_b32 v6, v6, 0
	v_lshlrev_b32_e32 v2, 2, v2
	v_bcnt_u32_b32 v1, v1, v6
	ds_add_u32 v2, v1
; %bb.6:
	s_or_b64 exec, exec, s[4:5]
	v_and_b32_e32 v1, 1, v3
	v_add_co_u32_e64 v2, s[0:1], -1, v1
	v_addc_co_u32_e64 v6, s[0:1], 0, -1, s[0:1]
	v_cmp_ne_u32_e64 s[0:1], 0, v1
	v_xor_b32_e32 v1, s1, v6
	v_lshlrev_b32_e32 v6, 30, v3
	v_xor_b32_e32 v2, s0, v2
	v_cmp_gt_i64_e64 s[0:1], 0, v[5:6]
	v_not_b32_e32 v6, v6
	v_ashrrev_i32_e32 v6, 31, v6
	v_and_b32_e32 v2, exec_lo, v2
	v_xor_b32_e32 v8, s1, v6
	v_xor_b32_e32 v6, s0, v6
	v_and_b32_e32 v2, v2, v6
	v_lshlrev_b32_e32 v6, 29, v3
	v_cmp_gt_i64_e64 s[0:1], 0, v[5:6]
	v_not_b32_e32 v6, v6
	v_and_b32_e32 v1, exec_hi, v1
	v_ashrrev_i32_e32 v6, 31, v6
	v_and_b32_e32 v1, v1, v8
	v_xor_b32_e32 v8, s1, v6
	v_xor_b32_e32 v6, s0, v6
	v_and_b32_e32 v2, v2, v6
	v_lshlrev_b32_e32 v6, 28, v3
	v_cmp_gt_i64_e64 s[0:1], 0, v[5:6]
	v_not_b32_e32 v6, v6
	v_ashrrev_i32_e32 v6, 31, v6
	v_and_b32_e32 v1, v1, v8
	v_xor_b32_e32 v8, s1, v6
	v_xor_b32_e32 v6, s0, v6
	v_and_b32_e32 v2, v2, v6
	v_lshlrev_b32_e32 v6, 27, v3
	v_cmp_gt_i64_e64 s[0:1], 0, v[5:6]
	v_not_b32_e32 v6, v6
	;; [unrolled: 8-line block ×6, first 2 shown]
	v_ashrrev_i32_e32 v5, 31, v5
	v_xor_b32_e32 v6, s1, v5
	v_xor_b32_e32 v5, s0, v5
	v_and_b32_e32 v1, v1, v8
	v_and_b32_e32 v2, v2, v5
	;; [unrolled: 1-line block ×3, first 2 shown]
	v_mbcnt_lo_u32_b32 v5, v2, 0
	v_mbcnt_hi_u32_b32 v5, v1, v5
	v_cmp_eq_u32_e64 s[0:1], 0, v5
	s_and_saveexec_b64 s[4:5], s[0:1]
; %bb.7:
	v_bcnt_u32_b32 v2, v2, 0
	v_lshlrev_b32_e32 v3, 2, v3
	v_bcnt_u32_b32 v1, v1, v2
	ds_add_u32 v3, v1
; %bb.8:
	s_or_b64 exec, exec, s[4:5]
	v_and_b32_e32 v2, 1, v4
	v_add_co_u32_e64 v3, s[0:1], -1, v2
	v_addc_co_u32_e64 v5, s[0:1], 0, -1, s[0:1]
	v_cmp_ne_u32_e64 s[0:1], 0, v2
	v_xor_b32_e32 v2, s1, v5
	v_mov_b32_e32 v1, 0
	v_and_b32_e32 v5, exec_hi, v2
	v_lshlrev_b32_e32 v2, 30, v4
	v_xor_b32_e32 v3, s0, v3
	v_cmp_gt_i64_e64 s[0:1], 0, v[1:2]
	v_not_b32_e32 v2, v2
	v_ashrrev_i32_e32 v2, 31, v2
	v_and_b32_e32 v3, exec_lo, v3
	v_xor_b32_e32 v6, s1, v2
	v_xor_b32_e32 v2, s0, v2
	v_and_b32_e32 v3, v3, v2
	v_lshlrev_b32_e32 v2, 29, v4
	v_cmp_gt_i64_e64 s[0:1], 0, v[1:2]
	v_not_b32_e32 v2, v2
	v_ashrrev_i32_e32 v2, 31, v2
	v_and_b32_e32 v5, v5, v6
	v_xor_b32_e32 v6, s1, v2
	v_xor_b32_e32 v2, s0, v2
	v_and_b32_e32 v3, v3, v2
	v_lshlrev_b32_e32 v2, 28, v4
	v_cmp_gt_i64_e64 s[0:1], 0, v[1:2]
	v_not_b32_e32 v2, v2
	v_ashrrev_i32_e32 v2, 31, v2
	v_and_b32_e32 v5, v5, v6
	;; [unrolled: 8-line block ×7, first 2 shown]
	v_xor_b32_e32 v2, s1, v1
	v_xor_b32_e32 v6, s0, v1
	v_and_b32_e32 v1, v5, v2
	v_and_b32_e32 v2, v3, v6
	v_mbcnt_lo_u32_b32 v3, v2, 0
	v_mbcnt_hi_u32_b32 v3, v1, v3
	v_cmp_eq_u32_e64 s[0:1], 0, v3
	s_and_saveexec_b64 s[4:5], s[0:1]
; %bb.9:
	v_bcnt_u32_b32 v2, v2, 0
	v_lshlrev_b32_e32 v3, 2, v4
	v_bcnt_u32_b32 v1, v1, v2
	ds_add_u32 v3, v1
; %bb.10:
	s_or_b64 exec, exec, s[4:5]
	s_waitcnt lgkmcnt(0)
	s_barrier
	s_barrier
	s_and_saveexec_b64 s[0:1], vcc
	s_cbranch_execz .LBB24_12
; %bb.11:
	v_lshl_or_b32 v0, s6, 9, v0
	v_mov_b32_e32 v1, 0
	ds_read_b32 v3, v7
	v_lshlrev_b64 v[0:1], 2, v[0:1]
	v_mov_b32_e32 v2, s3
	v_add_co_u32_e32 v0, vcc, s2, v0
	v_addc_co_u32_e32 v1, vcc, v2, v1, vcc
	s_waitcnt lgkmcnt(0)
	global_store_dword v[0:1], v3, off
.LBB24_12:
	s_endpgm
	.section	.rodata,"a",@progbits
	.p2align	6, 0x0
	.amdhsa_kernel _Z16histogram_kernelILj512ELj4ELj512ELN6hipcub23BlockHistogramAlgorithmE0EjEvPT3_S3_
		.amdhsa_group_segment_fixed_size 2048
		.amdhsa_private_segment_fixed_size 0
		.amdhsa_kernarg_size 16
		.amdhsa_user_sgpr_count 6
		.amdhsa_user_sgpr_private_segment_buffer 1
		.amdhsa_user_sgpr_dispatch_ptr 0
		.amdhsa_user_sgpr_queue_ptr 0
		.amdhsa_user_sgpr_kernarg_segment_ptr 1
		.amdhsa_user_sgpr_dispatch_id 0
		.amdhsa_user_sgpr_flat_scratch_init 0
		.amdhsa_user_sgpr_private_segment_size 0
		.amdhsa_uses_dynamic_stack 0
		.amdhsa_system_sgpr_private_segment_wavefront_offset 0
		.amdhsa_system_sgpr_workgroup_id_x 1
		.amdhsa_system_sgpr_workgroup_id_y 0
		.amdhsa_system_sgpr_workgroup_id_z 0
		.amdhsa_system_sgpr_workgroup_info 0
		.amdhsa_system_vgpr_workitem_id 0
		.amdhsa_next_free_vgpr 11
		.amdhsa_next_free_sgpr 7
		.amdhsa_reserve_vcc 1
		.amdhsa_reserve_flat_scratch 0
		.amdhsa_float_round_mode_32 0
		.amdhsa_float_round_mode_16_64 0
		.amdhsa_float_denorm_mode_32 3
		.amdhsa_float_denorm_mode_16_64 3
		.amdhsa_dx10_clamp 1
		.amdhsa_ieee_mode 1
		.amdhsa_fp16_overflow 0
		.amdhsa_exception_fp_ieee_invalid_op 0
		.amdhsa_exception_fp_denorm_src 0
		.amdhsa_exception_fp_ieee_div_zero 0
		.amdhsa_exception_fp_ieee_overflow 0
		.amdhsa_exception_fp_ieee_underflow 0
		.amdhsa_exception_fp_ieee_inexact 0
		.amdhsa_exception_int_div_zero 0
	.end_amdhsa_kernel
	.section	.text._Z16histogram_kernelILj512ELj4ELj512ELN6hipcub23BlockHistogramAlgorithmE0EjEvPT3_S3_,"axG",@progbits,_Z16histogram_kernelILj512ELj4ELj512ELN6hipcub23BlockHistogramAlgorithmE0EjEvPT3_S3_,comdat
.Lfunc_end24:
	.size	_Z16histogram_kernelILj512ELj4ELj512ELN6hipcub23BlockHistogramAlgorithmE0EjEvPT3_S3_, .Lfunc_end24-_Z16histogram_kernelILj512ELj4ELj512ELN6hipcub23BlockHistogramAlgorithmE0EjEvPT3_S3_
                                        ; -- End function
	.set _Z16histogram_kernelILj512ELj4ELj512ELN6hipcub23BlockHistogramAlgorithmE0EjEvPT3_S3_.num_vgpr, 11
	.set _Z16histogram_kernelILj512ELj4ELj512ELN6hipcub23BlockHistogramAlgorithmE0EjEvPT3_S3_.num_agpr, 0
	.set _Z16histogram_kernelILj512ELj4ELj512ELN6hipcub23BlockHistogramAlgorithmE0EjEvPT3_S3_.numbered_sgpr, 7
	.set _Z16histogram_kernelILj512ELj4ELj512ELN6hipcub23BlockHistogramAlgorithmE0EjEvPT3_S3_.num_named_barrier, 0
	.set _Z16histogram_kernelILj512ELj4ELj512ELN6hipcub23BlockHistogramAlgorithmE0EjEvPT3_S3_.private_seg_size, 0
	.set _Z16histogram_kernelILj512ELj4ELj512ELN6hipcub23BlockHistogramAlgorithmE0EjEvPT3_S3_.uses_vcc, 1
	.set _Z16histogram_kernelILj512ELj4ELj512ELN6hipcub23BlockHistogramAlgorithmE0EjEvPT3_S3_.uses_flat_scratch, 0
	.set _Z16histogram_kernelILj512ELj4ELj512ELN6hipcub23BlockHistogramAlgorithmE0EjEvPT3_S3_.has_dyn_sized_stack, 0
	.set _Z16histogram_kernelILj512ELj4ELj512ELN6hipcub23BlockHistogramAlgorithmE0EjEvPT3_S3_.has_recursion, 0
	.set _Z16histogram_kernelILj512ELj4ELj512ELN6hipcub23BlockHistogramAlgorithmE0EjEvPT3_S3_.has_indirect_call, 0
	.section	.AMDGPU.csdata,"",@progbits
; Kernel info:
; codeLenInByte = 1748
; TotalNumSgprs: 11
; NumVgprs: 11
; ScratchSize: 0
; MemoryBound: 0
; FloatMode: 240
; IeeeMode: 1
; LDSByteSize: 2048 bytes/workgroup (compile time only)
; SGPRBlocks: 1
; VGPRBlocks: 2
; NumSGPRsForWavesPerEU: 11
; NumVGPRsForWavesPerEU: 11
; Occupancy: 10
; WaveLimiterHint : 0
; COMPUTE_PGM_RSRC2:SCRATCH_EN: 0
; COMPUTE_PGM_RSRC2:USER_SGPR: 6
; COMPUTE_PGM_RSRC2:TRAP_HANDLER: 0
; COMPUTE_PGM_RSRC2:TGID_X_EN: 1
; COMPUTE_PGM_RSRC2:TGID_Y_EN: 0
; COMPUTE_PGM_RSRC2:TGID_Z_EN: 0
; COMPUTE_PGM_RSRC2:TIDIG_COMP_CNT: 0
	.section	.text._Z16histogram_kernelILj256ELj3ELj512ELN6hipcub23BlockHistogramAlgorithmE0EjEvPT3_S3_,"axG",@progbits,_Z16histogram_kernelILj256ELj3ELj512ELN6hipcub23BlockHistogramAlgorithmE0EjEvPT3_S3_,comdat
	.protected	_Z16histogram_kernelILj256ELj3ELj512ELN6hipcub23BlockHistogramAlgorithmE0EjEvPT3_S3_ ; -- Begin function _Z16histogram_kernelILj256ELj3ELj512ELN6hipcub23BlockHistogramAlgorithmE0EjEvPT3_S3_
	.globl	_Z16histogram_kernelILj256ELj3ELj512ELN6hipcub23BlockHistogramAlgorithmE0EjEvPT3_S3_
	.p2align	8
	.type	_Z16histogram_kernelILj256ELj3ELj512ELN6hipcub23BlockHistogramAlgorithmE0EjEvPT3_S3_,@function
_Z16histogram_kernelILj256ELj3ELj512ELN6hipcub23BlockHistogramAlgorithmE0EjEvPT3_S3_: ; @_Z16histogram_kernelILj256ELj3ELj512ELN6hipcub23BlockHistogramAlgorithmE0EjEvPT3_S3_
; %bb.0:
	s_load_dwordx4 s[8:11], s[4:5], 0x0
	v_lshl_or_b32 v1, s6, 8, v0
	v_lshl_add_u32 v1, v1, 1, v1
	v_mov_b32_e32 v2, 0
	v_lshlrev_b64 v[3:4], 2, v[1:2]
	s_waitcnt lgkmcnt(0)
	v_mov_b32_e32 v5, s9
	v_add_co_u32_e32 v7, vcc, s8, v3
	v_addc_co_u32_e32 v8, vcc, v5, v4, vcc
	v_add_u32_e32 v3, 1, v1
	v_mov_b32_e32 v4, v2
	v_lshlrev_b64 v[3:4], 2, v[3:4]
	v_add_u32_e32 v1, 2, v1
	v_add_co_u32_e32 v9, vcc, s8, v3
	v_addc_co_u32_e32 v10, vcc, v5, v4, vcc
	v_lshlrev_b64 v[3:4], 2, v[1:2]
	v_mov_b32_e32 v1, s9
	v_add_co_u32_e32 v11, vcc, s8, v3
	v_addc_co_u32_e32 v12, vcc, v1, v4, vcc
	global_load_dword v6, v[7:8], off
	global_load_dword v5, v[9:10], off
	;; [unrolled: 1-line block ×3, first 2 shown]
	s_movk_i32 s0, 0x200
	v_cmp_gt_u32_e64 s[0:1], s0, v0
	v_lshlrev_b32_e32 v3, 2, v0
	s_and_saveexec_b64 s[2:3], s[0:1]
; %bb.1:
	ds_write_b32 v3, v2
; %bb.2:
	s_or_b64 exec, exec, s[2:3]
	s_movk_i32 s2, 0x100
	v_cmp_gt_u32_e32 vcc, s2, v0
	s_and_saveexec_b64 s[2:3], vcc
; %bb.3:
	v_mov_b32_e32 v1, 0
	ds_write_b32 v3, v1 offset:1024
; %bb.4:
	s_or_b64 exec, exec, s[2:3]
	s_waitcnt vmcnt(2)
	v_and_b32_e32 v2, 1, v6
	v_add_co_u32_e64 v7, s[2:3], -1, v2
	v_addc_co_u32_e64 v8, s[2:3], 0, -1, s[2:3]
	v_cmp_ne_u32_e64 s[2:3], 0, v2
	v_xor_b32_e32 v2, s3, v8
	v_mov_b32_e32 v1, 0
	v_and_b32_e32 v8, exec_hi, v2
	v_lshlrev_b32_e32 v2, 30, v6
	v_xor_b32_e32 v7, s2, v7
	v_cmp_gt_i64_e64 s[2:3], 0, v[1:2]
	v_not_b32_e32 v2, v2
	v_ashrrev_i32_e32 v2, 31, v2
	v_and_b32_e32 v7, exec_lo, v7
	v_xor_b32_e32 v9, s3, v2
	v_xor_b32_e32 v2, s2, v2
	v_and_b32_e32 v7, v7, v2
	v_lshlrev_b32_e32 v2, 29, v6
	v_cmp_gt_i64_e64 s[2:3], 0, v[1:2]
	v_not_b32_e32 v2, v2
	v_ashrrev_i32_e32 v2, 31, v2
	v_and_b32_e32 v8, v8, v9
	v_xor_b32_e32 v9, s3, v2
	v_xor_b32_e32 v2, s2, v2
	v_and_b32_e32 v7, v7, v2
	v_lshlrev_b32_e32 v2, 28, v6
	v_cmp_gt_i64_e64 s[2:3], 0, v[1:2]
	v_not_b32_e32 v2, v2
	v_ashrrev_i32_e32 v2, 31, v2
	v_and_b32_e32 v8, v8, v9
	;; [unrolled: 8-line block ×6, first 2 shown]
	v_xor_b32_e32 v9, s3, v2
	v_xor_b32_e32 v2, s2, v2
	v_and_b32_e32 v7, v7, v2
	v_lshlrev_b32_e32 v2, 23, v6
	v_cmp_gt_i64_e64 s[2:3], 0, v[1:2]
	v_not_b32_e32 v2, v2
	v_ashrrev_i32_e32 v2, 31, v2
	v_xor_b32_e32 v10, s2, v2
	v_and_b32_e32 v8, v8, v9
	v_xor_b32_e32 v9, s3, v2
	v_and_b32_e32 v7, v7, v10
	v_and_b32_e32 v2, v8, v9
	v_mbcnt_lo_u32_b32 v8, v7, 0
	v_mbcnt_hi_u32_b32 v8, v2, v8
	v_cmp_eq_u32_e64 s[2:3], 0, v8
	s_waitcnt vmcnt(0) lgkmcnt(0)
	s_barrier
	s_and_saveexec_b64 s[4:5], s[2:3]
; %bb.5:
	v_bcnt_u32_b32 v7, v7, 0
	v_lshlrev_b32_e32 v6, 2, v6
	v_bcnt_u32_b32 v2, v2, v7
	ds_add_u32 v6, v2
; %bb.6:
	s_or_b64 exec, exec, s[4:5]
	v_and_b32_e32 v2, 1, v5
	v_add_co_u32_e64 v6, s[2:3], -1, v2
	v_addc_co_u32_e64 v7, s[2:3], 0, -1, s[2:3]
	v_cmp_ne_u32_e64 s[2:3], 0, v2
	v_xor_b32_e32 v2, s3, v7
	v_and_b32_e32 v7, exec_hi, v2
	v_lshlrev_b32_e32 v2, 30, v5
	v_xor_b32_e32 v6, s2, v6
	v_cmp_gt_i64_e64 s[2:3], 0, v[1:2]
	v_not_b32_e32 v2, v2
	v_ashrrev_i32_e32 v2, 31, v2
	v_and_b32_e32 v6, exec_lo, v6
	v_xor_b32_e32 v8, s3, v2
	v_xor_b32_e32 v2, s2, v2
	v_and_b32_e32 v6, v6, v2
	v_lshlrev_b32_e32 v2, 29, v5
	v_cmp_gt_i64_e64 s[2:3], 0, v[1:2]
	v_not_b32_e32 v2, v2
	v_ashrrev_i32_e32 v2, 31, v2
	v_and_b32_e32 v7, v7, v8
	v_xor_b32_e32 v8, s3, v2
	v_xor_b32_e32 v2, s2, v2
	v_and_b32_e32 v6, v6, v2
	v_lshlrev_b32_e32 v2, 28, v5
	v_cmp_gt_i64_e64 s[2:3], 0, v[1:2]
	v_not_b32_e32 v2, v2
	v_ashrrev_i32_e32 v2, 31, v2
	v_and_b32_e32 v7, v7, v8
	v_xor_b32_e32 v8, s3, v2
	v_xor_b32_e32 v2, s2, v2
	v_and_b32_e32 v6, v6, v2
	v_lshlrev_b32_e32 v2, 27, v5
	v_cmp_gt_i64_e64 s[2:3], 0, v[1:2]
	v_not_b32_e32 v2, v2
	v_ashrrev_i32_e32 v2, 31, v2
	v_and_b32_e32 v7, v7, v8
	v_xor_b32_e32 v8, s3, v2
	v_xor_b32_e32 v2, s2, v2
	v_and_b32_e32 v6, v6, v2
	v_lshlrev_b32_e32 v2, 26, v5
	v_cmp_gt_i64_e64 s[2:3], 0, v[1:2]
	v_not_b32_e32 v2, v2
	v_ashrrev_i32_e32 v2, 31, v2
	v_and_b32_e32 v7, v7, v8
	v_xor_b32_e32 v8, s3, v2
	v_xor_b32_e32 v2, s2, v2
	v_and_b32_e32 v6, v6, v2
	v_lshlrev_b32_e32 v2, 25, v5
	v_cmp_gt_i64_e64 s[2:3], 0, v[1:2]
	v_not_b32_e32 v2, v2
	v_ashrrev_i32_e32 v2, 31, v2
	v_and_b32_e32 v7, v7, v8
	v_xor_b32_e32 v8, s3, v2
	v_xor_b32_e32 v2, s2, v2
	v_and_b32_e32 v6, v6, v2
	v_lshlrev_b32_e32 v2, 24, v5
	v_cmp_gt_i64_e64 s[2:3], 0, v[1:2]
	v_not_b32_e32 v2, v2
	v_ashrrev_i32_e32 v2, 31, v2
	v_and_b32_e32 v7, v7, v8
	v_xor_b32_e32 v8, s3, v2
	v_xor_b32_e32 v2, s2, v2
	v_and_b32_e32 v6, v6, v2
	v_lshlrev_b32_e32 v2, 23, v5
	v_cmp_gt_i64_e64 s[2:3], 0, v[1:2]
	v_not_b32_e32 v1, v2
	v_ashrrev_i32_e32 v1, 31, v1
	v_and_b32_e32 v7, v7, v8
	v_xor_b32_e32 v2, s3, v1
	v_xor_b32_e32 v8, s2, v1
	v_and_b32_e32 v1, v7, v2
	v_and_b32_e32 v2, v6, v8
	v_mbcnt_lo_u32_b32 v6, v2, 0
	v_mbcnt_hi_u32_b32 v6, v1, v6
	v_cmp_eq_u32_e64 s[2:3], 0, v6
	s_and_saveexec_b64 s[4:5], s[2:3]
; %bb.7:
	v_bcnt_u32_b32 v2, v2, 0
	v_lshlrev_b32_e32 v5, 2, v5
	v_bcnt_u32_b32 v1, v1, v2
	ds_add_u32 v5, v1
; %bb.8:
	s_or_b64 exec, exec, s[4:5]
	v_and_b32_e32 v2, 1, v4
	v_add_co_u32_e64 v5, s[2:3], -1, v2
	v_addc_co_u32_e64 v6, s[2:3], 0, -1, s[2:3]
	v_cmp_ne_u32_e64 s[2:3], 0, v2
	v_xor_b32_e32 v2, s3, v6
	v_mov_b32_e32 v1, 0
	v_and_b32_e32 v6, exec_hi, v2
	v_lshlrev_b32_e32 v2, 30, v4
	v_xor_b32_e32 v5, s2, v5
	v_cmp_gt_i64_e64 s[2:3], 0, v[1:2]
	v_not_b32_e32 v2, v2
	v_ashrrev_i32_e32 v2, 31, v2
	v_and_b32_e32 v5, exec_lo, v5
	v_xor_b32_e32 v7, s3, v2
	v_xor_b32_e32 v2, s2, v2
	v_and_b32_e32 v5, v5, v2
	v_lshlrev_b32_e32 v2, 29, v4
	v_cmp_gt_i64_e64 s[2:3], 0, v[1:2]
	v_not_b32_e32 v2, v2
	v_ashrrev_i32_e32 v2, 31, v2
	v_and_b32_e32 v6, v6, v7
	v_xor_b32_e32 v7, s3, v2
	v_xor_b32_e32 v2, s2, v2
	v_and_b32_e32 v5, v5, v2
	v_lshlrev_b32_e32 v2, 28, v4
	v_cmp_gt_i64_e64 s[2:3], 0, v[1:2]
	v_not_b32_e32 v2, v2
	v_ashrrev_i32_e32 v2, 31, v2
	v_and_b32_e32 v6, v6, v7
	v_xor_b32_e32 v7, s3, v2
	v_xor_b32_e32 v2, s2, v2
	v_and_b32_e32 v5, v5, v2
	v_lshlrev_b32_e32 v2, 27, v4
	v_cmp_gt_i64_e64 s[2:3], 0, v[1:2]
	v_not_b32_e32 v2, v2
	v_ashrrev_i32_e32 v2, 31, v2
	v_and_b32_e32 v6, v6, v7
	v_xor_b32_e32 v7, s3, v2
	v_xor_b32_e32 v2, s2, v2
	v_and_b32_e32 v5, v5, v2
	v_lshlrev_b32_e32 v2, 26, v4
	v_cmp_gt_i64_e64 s[2:3], 0, v[1:2]
	v_not_b32_e32 v2, v2
	v_ashrrev_i32_e32 v2, 31, v2
	v_and_b32_e32 v6, v6, v7
	v_xor_b32_e32 v7, s3, v2
	v_xor_b32_e32 v2, s2, v2
	v_and_b32_e32 v5, v5, v2
	v_lshlrev_b32_e32 v2, 25, v4
	v_cmp_gt_i64_e64 s[2:3], 0, v[1:2]
	v_not_b32_e32 v2, v2
	v_ashrrev_i32_e32 v2, 31, v2
	v_and_b32_e32 v6, v6, v7
	v_xor_b32_e32 v7, s3, v2
	v_xor_b32_e32 v2, s2, v2
	v_and_b32_e32 v5, v5, v2
	v_lshlrev_b32_e32 v2, 24, v4
	v_cmp_gt_i64_e64 s[2:3], 0, v[1:2]
	v_not_b32_e32 v2, v2
	v_ashrrev_i32_e32 v2, 31, v2
	v_and_b32_e32 v6, v6, v7
	v_xor_b32_e32 v7, s3, v2
	v_xor_b32_e32 v2, s2, v2
	v_and_b32_e32 v5, v5, v2
	v_lshlrev_b32_e32 v2, 23, v4
	v_cmp_gt_i64_e64 s[2:3], 0, v[1:2]
	v_not_b32_e32 v1, v2
	v_ashrrev_i32_e32 v1, 31, v1
	v_and_b32_e32 v6, v6, v7
	v_xor_b32_e32 v2, s3, v1
	v_xor_b32_e32 v7, s2, v1
	v_and_b32_e32 v1, v6, v2
	v_and_b32_e32 v2, v5, v7
	v_mbcnt_lo_u32_b32 v5, v2, 0
	v_mbcnt_hi_u32_b32 v5, v1, v5
	v_cmp_eq_u32_e64 s[2:3], 0, v5
	s_and_saveexec_b64 s[4:5], s[2:3]
; %bb.9:
	v_bcnt_u32_b32 v2, v2, 0
	v_lshlrev_b32_e32 v4, 2, v4
	v_bcnt_u32_b32 v1, v1, v2
	ds_add_u32 v4, v1
; %bb.10:
	s_or_b64 exec, exec, s[4:5]
	s_lshl_b32 s4, s6, 9
	v_mov_b32_e32 v1, s4
	s_waitcnt lgkmcnt(0)
	s_barrier
	s_barrier
	s_and_saveexec_b64 s[2:3], s[0:1]
	s_cbranch_execnz .LBB25_13
; %bb.11:
	s_or_b64 exec, exec, s[2:3]
	s_and_saveexec_b64 s[0:1], vcc
	s_cbranch_execnz .LBB25_14
.LBB25_12:
	s_endpgm
.LBB25_13:
	v_or_b32_e32 v1, s4, v0
	v_mov_b32_e32 v2, 0
	ds_read_b32 v5, v3
	v_lshlrev_b64 v[1:2], 2, v[1:2]
	v_mov_b32_e32 v4, s11
	v_add_co_u32_e64 v1, s[0:1], s10, v1
	s_or_b32 s5, s4, 0x100
	v_addc_co_u32_e64 v2, s[0:1], v4, v2, s[0:1]
	s_waitcnt lgkmcnt(0)
	global_store_dword v[1:2], v5, off
	v_mov_b32_e32 v1, s5
	s_or_b64 exec, exec, s[2:3]
	s_and_saveexec_b64 s[0:1], vcc
	s_cbranch_execz .LBB25_12
.LBB25_14:
	v_add_u32_e32 v0, v1, v0
	v_mov_b32_e32 v1, 0
	ds_read_b32 v3, v3 offset:1024
	v_lshlrev_b64 v[0:1], 2, v[0:1]
	v_mov_b32_e32 v2, s11
	v_add_co_u32_e32 v0, vcc, s10, v0
	v_addc_co_u32_e32 v1, vcc, v2, v1, vcc
	s_waitcnt lgkmcnt(0)
	global_store_dword v[0:1], v3, off
	s_endpgm
	.section	.rodata,"a",@progbits
	.p2align	6, 0x0
	.amdhsa_kernel _Z16histogram_kernelILj256ELj3ELj512ELN6hipcub23BlockHistogramAlgorithmE0EjEvPT3_S3_
		.amdhsa_group_segment_fixed_size 2048
		.amdhsa_private_segment_fixed_size 0
		.amdhsa_kernarg_size 16
		.amdhsa_user_sgpr_count 6
		.amdhsa_user_sgpr_private_segment_buffer 1
		.amdhsa_user_sgpr_dispatch_ptr 0
		.amdhsa_user_sgpr_queue_ptr 0
		.amdhsa_user_sgpr_kernarg_segment_ptr 1
		.amdhsa_user_sgpr_dispatch_id 0
		.amdhsa_user_sgpr_flat_scratch_init 0
		.amdhsa_user_sgpr_private_segment_size 0
		.amdhsa_uses_dynamic_stack 0
		.amdhsa_system_sgpr_private_segment_wavefront_offset 0
		.amdhsa_system_sgpr_workgroup_id_x 1
		.amdhsa_system_sgpr_workgroup_id_y 0
		.amdhsa_system_sgpr_workgroup_id_z 0
		.amdhsa_system_sgpr_workgroup_info 0
		.amdhsa_system_vgpr_workitem_id 0
		.amdhsa_next_free_vgpr 13
		.amdhsa_next_free_sgpr 12
		.amdhsa_reserve_vcc 1
		.amdhsa_reserve_flat_scratch 0
		.amdhsa_float_round_mode_32 0
		.amdhsa_float_round_mode_16_64 0
		.amdhsa_float_denorm_mode_32 3
		.amdhsa_float_denorm_mode_16_64 3
		.amdhsa_dx10_clamp 1
		.amdhsa_ieee_mode 1
		.amdhsa_fp16_overflow 0
		.amdhsa_exception_fp_ieee_invalid_op 0
		.amdhsa_exception_fp_denorm_src 0
		.amdhsa_exception_fp_ieee_div_zero 0
		.amdhsa_exception_fp_ieee_overflow 0
		.amdhsa_exception_fp_ieee_underflow 0
		.amdhsa_exception_fp_ieee_inexact 0
		.amdhsa_exception_int_div_zero 0
	.end_amdhsa_kernel
	.section	.text._Z16histogram_kernelILj256ELj3ELj512ELN6hipcub23BlockHistogramAlgorithmE0EjEvPT3_S3_,"axG",@progbits,_Z16histogram_kernelILj256ELj3ELj512ELN6hipcub23BlockHistogramAlgorithmE0EjEvPT3_S3_,comdat
.Lfunc_end25:
	.size	_Z16histogram_kernelILj256ELj3ELj512ELN6hipcub23BlockHistogramAlgorithmE0EjEvPT3_S3_, .Lfunc_end25-_Z16histogram_kernelILj256ELj3ELj512ELN6hipcub23BlockHistogramAlgorithmE0EjEvPT3_S3_
                                        ; -- End function
	.set _Z16histogram_kernelILj256ELj3ELj512ELN6hipcub23BlockHistogramAlgorithmE0EjEvPT3_S3_.num_vgpr, 13
	.set _Z16histogram_kernelILj256ELj3ELj512ELN6hipcub23BlockHistogramAlgorithmE0EjEvPT3_S3_.num_agpr, 0
	.set _Z16histogram_kernelILj256ELj3ELj512ELN6hipcub23BlockHistogramAlgorithmE0EjEvPT3_S3_.numbered_sgpr, 12
	.set _Z16histogram_kernelILj256ELj3ELj512ELN6hipcub23BlockHistogramAlgorithmE0EjEvPT3_S3_.num_named_barrier, 0
	.set _Z16histogram_kernelILj256ELj3ELj512ELN6hipcub23BlockHistogramAlgorithmE0EjEvPT3_S3_.private_seg_size, 0
	.set _Z16histogram_kernelILj256ELj3ELj512ELN6hipcub23BlockHistogramAlgorithmE0EjEvPT3_S3_.uses_vcc, 1
	.set _Z16histogram_kernelILj256ELj3ELj512ELN6hipcub23BlockHistogramAlgorithmE0EjEvPT3_S3_.uses_flat_scratch, 0
	.set _Z16histogram_kernelILj256ELj3ELj512ELN6hipcub23BlockHistogramAlgorithmE0EjEvPT3_S3_.has_dyn_sized_stack, 0
	.set _Z16histogram_kernelILj256ELj3ELj512ELN6hipcub23BlockHistogramAlgorithmE0EjEvPT3_S3_.has_recursion, 0
	.set _Z16histogram_kernelILj256ELj3ELj512ELN6hipcub23BlockHistogramAlgorithmE0EjEvPT3_S3_.has_indirect_call, 0
	.section	.AMDGPU.csdata,"",@progbits
; Kernel info:
; codeLenInByte = 1556
; TotalNumSgprs: 16
; NumVgprs: 13
; ScratchSize: 0
; MemoryBound: 0
; FloatMode: 240
; IeeeMode: 1
; LDSByteSize: 2048 bytes/workgroup (compile time only)
; SGPRBlocks: 1
; VGPRBlocks: 3
; NumSGPRsForWavesPerEU: 16
; NumVGPRsForWavesPerEU: 13
; Occupancy: 10
; WaveLimiterHint : 0
; COMPUTE_PGM_RSRC2:SCRATCH_EN: 0
; COMPUTE_PGM_RSRC2:USER_SGPR: 6
; COMPUTE_PGM_RSRC2:TRAP_HANDLER: 0
; COMPUTE_PGM_RSRC2:TGID_X_EN: 1
; COMPUTE_PGM_RSRC2:TGID_Y_EN: 0
; COMPUTE_PGM_RSRC2:TGID_Z_EN: 0
; COMPUTE_PGM_RSRC2:TIDIG_COMP_CNT: 0
	.section	.text._Z16histogram_kernelILj32ELj2ELj64ELN6hipcub23BlockHistogramAlgorithmE0EjEvPT3_S3_,"axG",@progbits,_Z16histogram_kernelILj32ELj2ELj64ELN6hipcub23BlockHistogramAlgorithmE0EjEvPT3_S3_,comdat
	.protected	_Z16histogram_kernelILj32ELj2ELj64ELN6hipcub23BlockHistogramAlgorithmE0EjEvPT3_S3_ ; -- Begin function _Z16histogram_kernelILj32ELj2ELj64ELN6hipcub23BlockHistogramAlgorithmE0EjEvPT3_S3_
	.globl	_Z16histogram_kernelILj32ELj2ELj64ELN6hipcub23BlockHistogramAlgorithmE0EjEvPT3_S3_
	.p2align	8
	.type	_Z16histogram_kernelILj32ELj2ELj64ELN6hipcub23BlockHistogramAlgorithmE0EjEvPT3_S3_,@function
_Z16histogram_kernelILj32ELj2ELj64ELN6hipcub23BlockHistogramAlgorithmE0EjEvPT3_S3_: ; @_Z16histogram_kernelILj32ELj2ELj64ELN6hipcub23BlockHistogramAlgorithmE0EjEvPT3_S3_
; %bb.0:
	s_load_dwordx4 s[8:11], s[4:5], 0x0
	s_lshl_b32 s6, s6, 6
	v_lshl_or_b32 v2, v0, 1, s6
	v_mov_b32_e32 v3, 0
	v_lshlrev_b64 v[1:2], 2, v[2:3]
	s_waitcnt lgkmcnt(0)
	v_mov_b32_e32 v4, s9
	v_add_co_u32_e32 v1, vcc, s8, v1
	v_addc_co_u32_e32 v2, vcc, v4, v2, vcc
	global_load_dwordx2 v[1:2], v[1:2], off
	v_cmp_gt_u32_e64 s[0:1], 64, v0
	v_lshlrev_b32_e32 v5, 2, v0
	s_and_saveexec_b64 s[2:3], s[0:1]
; %bb.1:
	ds_write_b32 v5, v3
; %bb.2:
	s_or_b64 exec, exec, s[2:3]
	v_cmp_gt_u32_e32 vcc, 32, v0
	s_and_saveexec_b64 s[2:3], vcc
; %bb.3:
	v_mov_b32_e32 v3, 0
	ds_write_b32 v5, v3 offset:128
; %bb.4:
	s_or_b64 exec, exec, s[2:3]
	s_waitcnt vmcnt(0)
	v_and_b32_e32 v4, 1, v1
	v_add_co_u32_e64 v6, s[2:3], -1, v4
	v_addc_co_u32_e64 v7, s[2:3], 0, -1, s[2:3]
	v_cmp_ne_u32_e64 s[2:3], 0, v4
	v_xor_b32_e32 v4, s3, v7
	v_mov_b32_e32 v3, 0
	v_and_b32_e32 v7, exec_hi, v4
	v_lshlrev_b32_e32 v4, 30, v1
	v_xor_b32_e32 v6, s2, v6
	v_cmp_gt_i64_e64 s[2:3], 0, v[3:4]
	v_not_b32_e32 v4, v4
	v_ashrrev_i32_e32 v4, 31, v4
	v_and_b32_e32 v6, exec_lo, v6
	v_xor_b32_e32 v8, s3, v4
	v_xor_b32_e32 v4, s2, v4
	v_and_b32_e32 v6, v6, v4
	v_lshlrev_b32_e32 v4, 29, v1
	v_cmp_gt_i64_e64 s[2:3], 0, v[3:4]
	v_not_b32_e32 v4, v4
	v_ashrrev_i32_e32 v4, 31, v4
	v_and_b32_e32 v7, v7, v8
	v_xor_b32_e32 v8, s3, v4
	v_xor_b32_e32 v4, s2, v4
	v_and_b32_e32 v6, v6, v4
	v_lshlrev_b32_e32 v4, 28, v1
	v_cmp_gt_i64_e64 s[2:3], 0, v[3:4]
	v_not_b32_e32 v4, v4
	v_ashrrev_i32_e32 v4, 31, v4
	v_and_b32_e32 v7, v7, v8
	;; [unrolled: 8-line block ×3, first 2 shown]
	v_xor_b32_e32 v8, s3, v4
	v_xor_b32_e32 v4, s2, v4
	v_and_b32_e32 v6, v6, v4
	v_lshlrev_b32_e32 v4, 26, v1
	v_cmp_gt_i64_e64 s[2:3], 0, v[3:4]
	v_not_b32_e32 v4, v4
	v_ashrrev_i32_e32 v4, 31, v4
	v_xor_b32_e32 v9, s2, v4
	v_and_b32_e32 v7, v7, v8
	v_xor_b32_e32 v8, s3, v4
	v_and_b32_e32 v6, v6, v9
	v_and_b32_e32 v4, v7, v8
	v_mbcnt_lo_u32_b32 v7, v6, 0
	v_mbcnt_hi_u32_b32 v7, v4, v7
	v_cmp_eq_u32_e64 s[2:3], 0, v7
	s_waitcnt lgkmcnt(0)
	; wave barrier
	s_and_saveexec_b64 s[4:5], s[2:3]
; %bb.5:
	v_bcnt_u32_b32 v6, v6, 0
	v_lshlrev_b32_e32 v1, 2, v1
	v_bcnt_u32_b32 v4, v4, v6
	ds_add_u32 v1, v4
; %bb.6:
	s_or_b64 exec, exec, s[4:5]
	v_and_b32_e32 v1, 1, v2
	v_add_co_u32_e64 v4, s[2:3], -1, v1
	v_addc_co_u32_e64 v6, s[2:3], 0, -1, s[2:3]
	v_cmp_ne_u32_e64 s[2:3], 0, v1
	v_xor_b32_e32 v4, s2, v4
	v_xor_b32_e32 v1, s3, v6
	v_and_b32_e32 v6, exec_lo, v4
	v_lshlrev_b32_e32 v4, 30, v2
	v_cmp_gt_i64_e64 s[2:3], 0, v[3:4]
	v_not_b32_e32 v4, v4
	v_ashrrev_i32_e32 v4, 31, v4
	v_xor_b32_e32 v7, s3, v4
	v_xor_b32_e32 v4, s2, v4
	v_and_b32_e32 v6, v6, v4
	v_lshlrev_b32_e32 v4, 29, v2
	v_cmp_gt_i64_e64 s[2:3], 0, v[3:4]
	v_not_b32_e32 v4, v4
	v_and_b32_e32 v1, exec_hi, v1
	v_ashrrev_i32_e32 v4, 31, v4
	v_and_b32_e32 v1, v1, v7
	v_xor_b32_e32 v7, s3, v4
	v_xor_b32_e32 v4, s2, v4
	v_and_b32_e32 v6, v6, v4
	v_lshlrev_b32_e32 v4, 28, v2
	v_cmp_gt_i64_e64 s[2:3], 0, v[3:4]
	v_not_b32_e32 v4, v4
	v_ashrrev_i32_e32 v4, 31, v4
	v_and_b32_e32 v1, v1, v7
	v_xor_b32_e32 v7, s3, v4
	v_xor_b32_e32 v4, s2, v4
	v_and_b32_e32 v6, v6, v4
	v_lshlrev_b32_e32 v4, 27, v2
	v_cmp_gt_i64_e64 s[2:3], 0, v[3:4]
	v_not_b32_e32 v4, v4
	;; [unrolled: 8-line block ×3, first 2 shown]
	v_ashrrev_i32_e32 v3, 31, v3
	v_xor_b32_e32 v4, s3, v3
	v_xor_b32_e32 v3, s2, v3
	v_and_b32_e32 v1, v1, v7
	v_and_b32_e32 v3, v6, v3
	;; [unrolled: 1-line block ×3, first 2 shown]
	v_mbcnt_lo_u32_b32 v4, v3, 0
	v_mbcnt_hi_u32_b32 v4, v1, v4
	v_cmp_eq_u32_e64 s[2:3], 0, v4
	s_and_saveexec_b64 s[4:5], s[2:3]
; %bb.7:
	v_bcnt_u32_b32 v3, v3, 0
	v_lshlrev_b32_e32 v2, 2, v2
	v_bcnt_u32_b32 v1, v1, v3
	ds_add_u32 v2, v1
; %bb.8:
	s_or_b64 exec, exec, s[4:5]
	v_mov_b32_e32 v1, s6
	s_waitcnt lgkmcnt(0)
	; wave barrier
	; wave barrier
	s_and_saveexec_b64 s[2:3], s[0:1]
	s_cbranch_execnz .LBB26_11
; %bb.9:
	s_or_b64 exec, exec, s[2:3]
	s_and_saveexec_b64 s[0:1], vcc
	s_cbranch_execnz .LBB26_12
.LBB26_10:
	s_endpgm
.LBB26_11:
	v_or_b32_e32 v1, s6, v0
	v_mov_b32_e32 v2, 0
	ds_read_b32 v4, v5
	v_lshlrev_b64 v[1:2], 2, v[1:2]
	v_mov_b32_e32 v3, s11
	v_add_co_u32_e64 v1, s[0:1], s10, v1
	s_or_b32 s4, s6, 32
	v_addc_co_u32_e64 v2, s[0:1], v3, v2, s[0:1]
	s_waitcnt lgkmcnt(0)
	global_store_dword v[1:2], v4, off
	v_mov_b32_e32 v1, s4
	s_or_b64 exec, exec, s[2:3]
	s_and_saveexec_b64 s[0:1], vcc
	s_cbranch_execz .LBB26_10
.LBB26_12:
	v_add_u32_e32 v0, v1, v0
	v_mov_b32_e32 v1, 0
	ds_read_b32 v3, v5 offset:128
	v_lshlrev_b64 v[0:1], 2, v[0:1]
	v_mov_b32_e32 v2, s11
	v_add_co_u32_e32 v0, vcc, s10, v0
	v_addc_co_u32_e32 v1, vcc, v2, v1, vcc
	s_waitcnt lgkmcnt(0)
	global_store_dword v[0:1], v3, off
	s_endpgm
	.section	.rodata,"a",@progbits
	.p2align	6, 0x0
	.amdhsa_kernel _Z16histogram_kernelILj32ELj2ELj64ELN6hipcub23BlockHistogramAlgorithmE0EjEvPT3_S3_
		.amdhsa_group_segment_fixed_size 256
		.amdhsa_private_segment_fixed_size 0
		.amdhsa_kernarg_size 16
		.amdhsa_user_sgpr_count 6
		.amdhsa_user_sgpr_private_segment_buffer 1
		.amdhsa_user_sgpr_dispatch_ptr 0
		.amdhsa_user_sgpr_queue_ptr 0
		.amdhsa_user_sgpr_kernarg_segment_ptr 1
		.amdhsa_user_sgpr_dispatch_id 0
		.amdhsa_user_sgpr_flat_scratch_init 0
		.amdhsa_user_sgpr_private_segment_size 0
		.amdhsa_uses_dynamic_stack 0
		.amdhsa_system_sgpr_private_segment_wavefront_offset 0
		.amdhsa_system_sgpr_workgroup_id_x 1
		.amdhsa_system_sgpr_workgroup_id_y 0
		.amdhsa_system_sgpr_workgroup_id_z 0
		.amdhsa_system_sgpr_workgroup_info 0
		.amdhsa_system_vgpr_workitem_id 0
		.amdhsa_next_free_vgpr 10
		.amdhsa_next_free_sgpr 12
		.amdhsa_reserve_vcc 1
		.amdhsa_reserve_flat_scratch 0
		.amdhsa_float_round_mode_32 0
		.amdhsa_float_round_mode_16_64 0
		.amdhsa_float_denorm_mode_32 3
		.amdhsa_float_denorm_mode_16_64 3
		.amdhsa_dx10_clamp 1
		.amdhsa_ieee_mode 1
		.amdhsa_fp16_overflow 0
		.amdhsa_exception_fp_ieee_invalid_op 0
		.amdhsa_exception_fp_denorm_src 0
		.amdhsa_exception_fp_ieee_div_zero 0
		.amdhsa_exception_fp_ieee_overflow 0
		.amdhsa_exception_fp_ieee_underflow 0
		.amdhsa_exception_fp_ieee_inexact 0
		.amdhsa_exception_int_div_zero 0
	.end_amdhsa_kernel
	.section	.text._Z16histogram_kernelILj32ELj2ELj64ELN6hipcub23BlockHistogramAlgorithmE0EjEvPT3_S3_,"axG",@progbits,_Z16histogram_kernelILj32ELj2ELj64ELN6hipcub23BlockHistogramAlgorithmE0EjEvPT3_S3_,comdat
.Lfunc_end26:
	.size	_Z16histogram_kernelILj32ELj2ELj64ELN6hipcub23BlockHistogramAlgorithmE0EjEvPT3_S3_, .Lfunc_end26-_Z16histogram_kernelILj32ELj2ELj64ELN6hipcub23BlockHistogramAlgorithmE0EjEvPT3_S3_
                                        ; -- End function
	.set _Z16histogram_kernelILj32ELj2ELj64ELN6hipcub23BlockHistogramAlgorithmE0EjEvPT3_S3_.num_vgpr, 10
	.set _Z16histogram_kernelILj32ELj2ELj64ELN6hipcub23BlockHistogramAlgorithmE0EjEvPT3_S3_.num_agpr, 0
	.set _Z16histogram_kernelILj32ELj2ELj64ELN6hipcub23BlockHistogramAlgorithmE0EjEvPT3_S3_.numbered_sgpr, 12
	.set _Z16histogram_kernelILj32ELj2ELj64ELN6hipcub23BlockHistogramAlgorithmE0EjEvPT3_S3_.num_named_barrier, 0
	.set _Z16histogram_kernelILj32ELj2ELj64ELN6hipcub23BlockHistogramAlgorithmE0EjEvPT3_S3_.private_seg_size, 0
	.set _Z16histogram_kernelILj32ELj2ELj64ELN6hipcub23BlockHistogramAlgorithmE0EjEvPT3_S3_.uses_vcc, 1
	.set _Z16histogram_kernelILj32ELj2ELj64ELN6hipcub23BlockHistogramAlgorithmE0EjEvPT3_S3_.uses_flat_scratch, 0
	.set _Z16histogram_kernelILj32ELj2ELj64ELN6hipcub23BlockHistogramAlgorithmE0EjEvPT3_S3_.has_dyn_sized_stack, 0
	.set _Z16histogram_kernelILj32ELj2ELj64ELN6hipcub23BlockHistogramAlgorithmE0EjEvPT3_S3_.has_recursion, 0
	.set _Z16histogram_kernelILj32ELj2ELj64ELN6hipcub23BlockHistogramAlgorithmE0EjEvPT3_S3_.has_indirect_call, 0
	.section	.AMDGPU.csdata,"",@progbits
; Kernel info:
; codeLenInByte = 848
; TotalNumSgprs: 16
; NumVgprs: 10
; ScratchSize: 0
; MemoryBound: 0
; FloatMode: 240
; IeeeMode: 1
; LDSByteSize: 256 bytes/workgroup (compile time only)
; SGPRBlocks: 1
; VGPRBlocks: 2
; NumSGPRsForWavesPerEU: 16
; NumVGPRsForWavesPerEU: 10
; Occupancy: 10
; WaveLimiterHint : 0
; COMPUTE_PGM_RSRC2:SCRATCH_EN: 0
; COMPUTE_PGM_RSRC2:USER_SGPR: 6
; COMPUTE_PGM_RSRC2:TRAP_HANDLER: 0
; COMPUTE_PGM_RSRC2:TGID_X_EN: 1
; COMPUTE_PGM_RSRC2:TGID_Y_EN: 0
; COMPUTE_PGM_RSRC2:TGID_Z_EN: 0
; COMPUTE_PGM_RSRC2:TIDIG_COMP_CNT: 0
	.section	.text._Z16histogram_kernelILj6ELj32ELj18ELN6hipcub23BlockHistogramAlgorithmE0EjEvPT3_S3_,"axG",@progbits,_Z16histogram_kernelILj6ELj32ELj18ELN6hipcub23BlockHistogramAlgorithmE0EjEvPT3_S3_,comdat
	.protected	_Z16histogram_kernelILj6ELj32ELj18ELN6hipcub23BlockHistogramAlgorithmE0EjEvPT3_S3_ ; -- Begin function _Z16histogram_kernelILj6ELj32ELj18ELN6hipcub23BlockHistogramAlgorithmE0EjEvPT3_S3_
	.globl	_Z16histogram_kernelILj6ELj32ELj18ELN6hipcub23BlockHistogramAlgorithmE0EjEvPT3_S3_
	.p2align	8
	.type	_Z16histogram_kernelILj6ELj32ELj18ELN6hipcub23BlockHistogramAlgorithmE0EjEvPT3_S3_,@function
_Z16histogram_kernelILj6ELj32ELj18ELN6hipcub23BlockHistogramAlgorithmE0EjEvPT3_S3_: ; @_Z16histogram_kernelILj6ELj32ELj18ELN6hipcub23BlockHistogramAlgorithmE0EjEvPT3_S3_
; %bb.0:
	s_load_dwordx4 s[8:11], s[4:5], 0x0
	s_mul_i32 s0, s6, 6
	v_add_lshl_u32 v32, s0, v0, 5
	v_mov_b32_e32 v33, 0
	v_lshlrev_b64 v[1:2], 2, v[32:33]
	s_waitcnt lgkmcnt(0)
	v_mov_b32_e32 v3, s9
	v_add_co_u32_e32 v34, vcc, s8, v1
	v_addc_co_u32_e32 v35, vcc, v3, v2, vcc
	global_load_dwordx4 v[17:20], v[34:35], off offset:48
	global_load_dwordx4 v[21:24], v[34:35], off offset:32
	;; [unrolled: 1-line block ×3, first 2 shown]
	global_load_dwordx4 v[29:32], v[34:35], off
	global_load_dwordx4 v[1:4], v[34:35], off offset:112
	global_load_dwordx4 v[5:8], v[34:35], off offset:96
	;; [unrolled: 1-line block ×4, first 2 shown]
	v_cmp_gt_u32_e64 s[2:3], 18, v0
	v_lshlrev_b32_e32 v35, 2, v0
	s_and_saveexec_b64 s[0:1], s[2:3]
	s_cbranch_execnz .LBB27_72
; %bb.1:
	s_or_b64 exec, exec, s[0:1]
	v_cmp_gt_u32_e64 s[0:1], 12, v0
	s_and_saveexec_b64 s[4:5], s[0:1]
	s_cbranch_execnz .LBB27_73
.LBB27_2:
	s_or_b64 exec, exec, s[4:5]
	v_cmp_gt_u32_e32 vcc, 6, v0
	s_and_saveexec_b64 s[4:5], vcc
.LBB27_3:
	v_mov_b32_e32 v33, 0
	ds_write_b32 v35, v33 offset:48
.LBB27_4:
	s_or_b64 exec, exec, s[4:5]
	s_waitcnt vmcnt(4)
	v_and_b32_e32 v34, 1, v29
	v_add_co_u32_e64 v36, s[4:5], -1, v34
	v_addc_co_u32_e64 v37, s[4:5], 0, -1, s[4:5]
	v_cmp_ne_u32_e64 s[4:5], 0, v34
	v_xor_b32_e32 v34, s5, v37
	v_mov_b32_e32 v33, 0
	v_and_b32_e32 v37, exec_hi, v34
	v_lshlrev_b32_e32 v34, 30, v29
	v_xor_b32_e32 v36, s4, v36
	v_cmp_gt_i64_e64 s[4:5], 0, v[33:34]
	v_not_b32_e32 v34, v34
	v_ashrrev_i32_e32 v34, 31, v34
	v_and_b32_e32 v36, exec_lo, v36
	v_xor_b32_e32 v38, s5, v34
	v_xor_b32_e32 v34, s4, v34
	v_and_b32_e32 v36, v36, v34
	v_lshlrev_b32_e32 v34, 29, v29
	v_cmp_gt_i64_e64 s[4:5], 0, v[33:34]
	v_not_b32_e32 v34, v34
	v_ashrrev_i32_e32 v34, 31, v34
	v_and_b32_e32 v37, v37, v38
	v_xor_b32_e32 v38, s5, v34
	v_xor_b32_e32 v34, s4, v34
	v_and_b32_e32 v36, v36, v34
	v_lshlrev_b32_e32 v34, 28, v29
	v_cmp_gt_i64_e64 s[4:5], 0, v[33:34]
	v_not_b32_e32 v34, v34
	v_ashrrev_i32_e32 v34, 31, v34
	v_and_b32_e32 v37, v37, v38
	v_xor_b32_e32 v38, s5, v34
	v_xor_b32_e32 v34, s4, v34
	v_and_b32_e32 v36, v36, v34
	v_lshlrev_b32_e32 v34, 27, v29
	v_cmp_gt_i64_e64 s[4:5], 0, v[33:34]
	v_not_b32_e32 v34, v34
	v_ashrrev_i32_e32 v34, 31, v34
	v_xor_b32_e32 v39, s4, v34
	v_and_b32_e32 v37, v37, v38
	v_xor_b32_e32 v38, s5, v34
	v_and_b32_e32 v36, v36, v39
	v_and_b32_e32 v34, v37, v38
	v_mbcnt_lo_u32_b32 v37, v36, 0
	v_mbcnt_hi_u32_b32 v37, v34, v37
	v_cmp_eq_u32_e64 s[4:5], 0, v37
	s_waitcnt lgkmcnt(0)
	; wave barrier
	s_and_saveexec_b64 s[8:9], s[4:5]
; %bb.5:
	v_bcnt_u32_b32 v36, v36, 0
	v_lshlrev_b32_e32 v29, 2, v29
	v_bcnt_u32_b32 v34, v34, v36
	ds_add_u32 v29, v34
; %bb.6:
	s_or_b64 exec, exec, s[8:9]
	v_and_b32_e32 v29, 1, v30
	v_add_co_u32_e64 v34, s[4:5], -1, v29
	v_addc_co_u32_e64 v36, s[4:5], 0, -1, s[4:5]
	v_cmp_ne_u32_e64 s[4:5], 0, v29
	v_xor_b32_e32 v34, s4, v34
	v_xor_b32_e32 v29, s5, v36
	v_and_b32_e32 v36, exec_lo, v34
	v_lshlrev_b32_e32 v34, 30, v30
	v_cmp_gt_i64_e64 s[4:5], 0, v[33:34]
	v_not_b32_e32 v34, v34
	v_ashrrev_i32_e32 v34, 31, v34
	v_xor_b32_e32 v37, s5, v34
	v_xor_b32_e32 v34, s4, v34
	v_and_b32_e32 v36, v36, v34
	v_lshlrev_b32_e32 v34, 29, v30
	v_cmp_gt_i64_e64 s[4:5], 0, v[33:34]
	v_not_b32_e32 v34, v34
	v_and_b32_e32 v29, exec_hi, v29
	v_ashrrev_i32_e32 v34, 31, v34
	v_and_b32_e32 v29, v29, v37
	v_xor_b32_e32 v37, s5, v34
	v_xor_b32_e32 v34, s4, v34
	v_and_b32_e32 v36, v36, v34
	v_lshlrev_b32_e32 v34, 28, v30
	v_cmp_gt_i64_e64 s[4:5], 0, v[33:34]
	v_not_b32_e32 v34, v34
	v_ashrrev_i32_e32 v34, 31, v34
	v_and_b32_e32 v29, v29, v37
	v_xor_b32_e32 v37, s5, v34
	v_xor_b32_e32 v34, s4, v34
	v_and_b32_e32 v36, v36, v34
	v_lshlrev_b32_e32 v34, 27, v30
	v_cmp_gt_i64_e64 s[4:5], 0, v[33:34]
	v_not_b32_e32 v33, v34
	v_ashrrev_i32_e32 v33, 31, v33
	v_xor_b32_e32 v34, s5, v33
	v_xor_b32_e32 v33, s4, v33
	v_and_b32_e32 v29, v29, v37
	v_and_b32_e32 v33, v36, v33
	;; [unrolled: 1-line block ×3, first 2 shown]
	v_mbcnt_lo_u32_b32 v34, v33, 0
	v_mbcnt_hi_u32_b32 v34, v29, v34
	v_cmp_eq_u32_e64 s[4:5], 0, v34
	s_and_saveexec_b64 s[8:9], s[4:5]
; %bb.7:
	v_bcnt_u32_b32 v33, v33, 0
	v_lshlrev_b32_e32 v30, 2, v30
	v_bcnt_u32_b32 v29, v29, v33
	ds_add_u32 v30, v29
; %bb.8:
	s_or_b64 exec, exec, s[8:9]
	v_and_b32_e32 v30, 1, v31
	v_add_co_u32_e64 v33, s[4:5], -1, v30
	v_addc_co_u32_e64 v34, s[4:5], 0, -1, s[4:5]
	v_cmp_ne_u32_e64 s[4:5], 0, v30
	v_xor_b32_e32 v30, s5, v34
	v_mov_b32_e32 v29, 0
	v_and_b32_e32 v34, exec_hi, v30
	v_lshlrev_b32_e32 v30, 30, v31
	v_xor_b32_e32 v33, s4, v33
	v_cmp_gt_i64_e64 s[4:5], 0, v[29:30]
	v_not_b32_e32 v30, v30
	v_ashrrev_i32_e32 v30, 31, v30
	v_and_b32_e32 v33, exec_lo, v33
	v_xor_b32_e32 v36, s5, v30
	v_xor_b32_e32 v30, s4, v30
	v_and_b32_e32 v33, v33, v30
	v_lshlrev_b32_e32 v30, 29, v31
	v_cmp_gt_i64_e64 s[4:5], 0, v[29:30]
	v_not_b32_e32 v30, v30
	v_ashrrev_i32_e32 v30, 31, v30
	v_and_b32_e32 v34, v34, v36
	v_xor_b32_e32 v36, s5, v30
	v_xor_b32_e32 v30, s4, v30
	v_and_b32_e32 v33, v33, v30
	v_lshlrev_b32_e32 v30, 28, v31
	v_cmp_gt_i64_e64 s[4:5], 0, v[29:30]
	v_not_b32_e32 v30, v30
	v_ashrrev_i32_e32 v30, 31, v30
	v_and_b32_e32 v34, v34, v36
	v_xor_b32_e32 v36, s5, v30
	v_xor_b32_e32 v30, s4, v30
	v_and_b32_e32 v33, v33, v30
	v_lshlrev_b32_e32 v30, 27, v31
	v_cmp_gt_i64_e64 s[4:5], 0, v[29:30]
	v_not_b32_e32 v30, v30
	v_ashrrev_i32_e32 v30, 31, v30
	v_xor_b32_e32 v37, s4, v30
	v_and_b32_e32 v34, v34, v36
	v_xor_b32_e32 v36, s5, v30
	v_and_b32_e32 v33, v33, v37
	v_and_b32_e32 v30, v34, v36
	v_mbcnt_lo_u32_b32 v34, v33, 0
	v_mbcnt_hi_u32_b32 v34, v30, v34
	v_cmp_eq_u32_e64 s[4:5], 0, v34
	s_and_saveexec_b64 s[8:9], s[4:5]
; %bb.9:
	v_bcnt_u32_b32 v33, v33, 0
	v_lshlrev_b32_e32 v31, 2, v31
	v_bcnt_u32_b32 v30, v30, v33
	ds_add_u32 v31, v30
; %bb.10:
	s_or_b64 exec, exec, s[8:9]
	v_and_b32_e32 v30, 1, v32
	v_add_co_u32_e64 v31, s[4:5], -1, v30
	v_addc_co_u32_e64 v33, s[4:5], 0, -1, s[4:5]
	v_cmp_ne_u32_e64 s[4:5], 0, v30
	v_xor_b32_e32 v30, s5, v33
	v_and_b32_e32 v33, exec_hi, v30
	v_lshlrev_b32_e32 v30, 30, v32
	v_xor_b32_e32 v31, s4, v31
	v_cmp_gt_i64_e64 s[4:5], 0, v[29:30]
	v_not_b32_e32 v30, v30
	v_ashrrev_i32_e32 v30, 31, v30
	v_and_b32_e32 v31, exec_lo, v31
	v_xor_b32_e32 v34, s5, v30
	v_xor_b32_e32 v30, s4, v30
	v_and_b32_e32 v31, v31, v30
	v_lshlrev_b32_e32 v30, 29, v32
	v_cmp_gt_i64_e64 s[4:5], 0, v[29:30]
	v_not_b32_e32 v30, v30
	v_ashrrev_i32_e32 v30, 31, v30
	v_and_b32_e32 v33, v33, v34
	v_xor_b32_e32 v34, s5, v30
	v_xor_b32_e32 v30, s4, v30
	v_and_b32_e32 v31, v31, v30
	v_lshlrev_b32_e32 v30, 28, v32
	v_cmp_gt_i64_e64 s[4:5], 0, v[29:30]
	v_not_b32_e32 v30, v30
	v_ashrrev_i32_e32 v30, 31, v30
	v_and_b32_e32 v33, v33, v34
	v_xor_b32_e32 v34, s5, v30
	v_xor_b32_e32 v30, s4, v30
	v_and_b32_e32 v31, v31, v30
	v_lshlrev_b32_e32 v30, 27, v32
	v_cmp_gt_i64_e64 s[4:5], 0, v[29:30]
	v_not_b32_e32 v29, v30
	v_ashrrev_i32_e32 v29, 31, v29
	v_and_b32_e32 v33, v33, v34
	v_xor_b32_e32 v30, s5, v29
	v_xor_b32_e32 v34, s4, v29
	v_and_b32_e32 v29, v33, v30
	v_and_b32_e32 v30, v31, v34
	v_mbcnt_lo_u32_b32 v31, v30, 0
	v_mbcnt_hi_u32_b32 v31, v29, v31
	v_cmp_eq_u32_e64 s[4:5], 0, v31
	s_and_saveexec_b64 s[8:9], s[4:5]
; %bb.11:
	v_bcnt_u32_b32 v30, v30, 0
	v_lshlrev_b32_e32 v31, 2, v32
	v_bcnt_u32_b32 v29, v29, v30
	ds_add_u32 v31, v29
; %bb.12:
	s_or_b64 exec, exec, s[8:9]
	v_and_b32_e32 v30, 1, v25
	v_add_co_u32_e64 v31, s[4:5], -1, v30
	v_addc_co_u32_e64 v32, s[4:5], 0, -1, s[4:5]
	v_cmp_ne_u32_e64 s[4:5], 0, v30
	v_xor_b32_e32 v30, s5, v32
	v_mov_b32_e32 v29, 0
	v_and_b32_e32 v32, exec_hi, v30
	v_lshlrev_b32_e32 v30, 30, v25
	v_xor_b32_e32 v31, s4, v31
	v_cmp_gt_i64_e64 s[4:5], 0, v[29:30]
	v_not_b32_e32 v30, v30
	v_ashrrev_i32_e32 v30, 31, v30
	v_and_b32_e32 v31, exec_lo, v31
	v_xor_b32_e32 v33, s5, v30
	v_xor_b32_e32 v30, s4, v30
	v_and_b32_e32 v31, v31, v30
	v_lshlrev_b32_e32 v30, 29, v25
	v_cmp_gt_i64_e64 s[4:5], 0, v[29:30]
	v_not_b32_e32 v30, v30
	v_ashrrev_i32_e32 v30, 31, v30
	v_and_b32_e32 v32, v32, v33
	v_xor_b32_e32 v33, s5, v30
	v_xor_b32_e32 v30, s4, v30
	v_and_b32_e32 v31, v31, v30
	v_lshlrev_b32_e32 v30, 28, v25
	v_cmp_gt_i64_e64 s[4:5], 0, v[29:30]
	v_not_b32_e32 v30, v30
	v_ashrrev_i32_e32 v30, 31, v30
	v_and_b32_e32 v32, v32, v33
	v_xor_b32_e32 v33, s5, v30
	v_xor_b32_e32 v30, s4, v30
	v_and_b32_e32 v31, v31, v30
	v_lshlrev_b32_e32 v30, 27, v25
	v_cmp_gt_i64_e64 s[4:5], 0, v[29:30]
	v_not_b32_e32 v30, v30
	v_ashrrev_i32_e32 v30, 31, v30
	v_xor_b32_e32 v34, s4, v30
	v_and_b32_e32 v32, v32, v33
	v_xor_b32_e32 v33, s5, v30
	v_and_b32_e32 v31, v31, v34
	v_and_b32_e32 v30, v32, v33
	v_mbcnt_lo_u32_b32 v32, v31, 0
	v_mbcnt_hi_u32_b32 v32, v30, v32
	v_cmp_eq_u32_e64 s[4:5], 0, v32
	s_and_saveexec_b64 s[8:9], s[4:5]
; %bb.13:
	v_bcnt_u32_b32 v31, v31, 0
	v_lshlrev_b32_e32 v25, 2, v25
	v_bcnt_u32_b32 v30, v30, v31
	ds_add_u32 v25, v30
; %bb.14:
	s_or_b64 exec, exec, s[8:9]
	v_and_b32_e32 v25, 1, v26
	v_add_co_u32_e64 v30, s[4:5], -1, v25
	v_addc_co_u32_e64 v31, s[4:5], 0, -1, s[4:5]
	v_cmp_ne_u32_e64 s[4:5], 0, v25
	v_xor_b32_e32 v30, s4, v30
	v_xor_b32_e32 v25, s5, v31
	v_and_b32_e32 v31, exec_lo, v30
	v_lshlrev_b32_e32 v30, 30, v26
	v_cmp_gt_i64_e64 s[4:5], 0, v[29:30]
	v_not_b32_e32 v30, v30
	v_ashrrev_i32_e32 v30, 31, v30
	v_xor_b32_e32 v32, s5, v30
	v_xor_b32_e32 v30, s4, v30
	v_and_b32_e32 v31, v31, v30
	v_lshlrev_b32_e32 v30, 29, v26
	v_cmp_gt_i64_e64 s[4:5], 0, v[29:30]
	v_not_b32_e32 v30, v30
	v_and_b32_e32 v25, exec_hi, v25
	v_ashrrev_i32_e32 v30, 31, v30
	v_and_b32_e32 v25, v25, v32
	v_xor_b32_e32 v32, s5, v30
	v_xor_b32_e32 v30, s4, v30
	v_and_b32_e32 v31, v31, v30
	v_lshlrev_b32_e32 v30, 28, v26
	v_cmp_gt_i64_e64 s[4:5], 0, v[29:30]
	v_not_b32_e32 v30, v30
	v_ashrrev_i32_e32 v30, 31, v30
	v_and_b32_e32 v25, v25, v32
	v_xor_b32_e32 v32, s5, v30
	v_xor_b32_e32 v30, s4, v30
	v_and_b32_e32 v31, v31, v30
	v_lshlrev_b32_e32 v30, 27, v26
	v_cmp_gt_i64_e64 s[4:5], 0, v[29:30]
	v_not_b32_e32 v29, v30
	v_ashrrev_i32_e32 v29, 31, v29
	v_xor_b32_e32 v30, s5, v29
	v_xor_b32_e32 v29, s4, v29
	v_and_b32_e32 v25, v25, v32
	v_and_b32_e32 v29, v31, v29
	;; [unrolled: 1-line block ×3, first 2 shown]
	v_mbcnt_lo_u32_b32 v30, v29, 0
	v_mbcnt_hi_u32_b32 v30, v25, v30
	v_cmp_eq_u32_e64 s[4:5], 0, v30
	s_and_saveexec_b64 s[8:9], s[4:5]
; %bb.15:
	v_bcnt_u32_b32 v29, v29, 0
	v_lshlrev_b32_e32 v26, 2, v26
	v_bcnt_u32_b32 v25, v25, v29
	ds_add_u32 v26, v25
; %bb.16:
	s_or_b64 exec, exec, s[8:9]
	v_and_b32_e32 v26, 1, v27
	v_add_co_u32_e64 v29, s[4:5], -1, v26
	v_addc_co_u32_e64 v30, s[4:5], 0, -1, s[4:5]
	v_cmp_ne_u32_e64 s[4:5], 0, v26
	v_xor_b32_e32 v26, s5, v30
	v_mov_b32_e32 v25, 0
	v_and_b32_e32 v30, exec_hi, v26
	v_lshlrev_b32_e32 v26, 30, v27
	v_xor_b32_e32 v29, s4, v29
	v_cmp_gt_i64_e64 s[4:5], 0, v[25:26]
	v_not_b32_e32 v26, v26
	v_ashrrev_i32_e32 v26, 31, v26
	v_and_b32_e32 v29, exec_lo, v29
	v_xor_b32_e32 v31, s5, v26
	v_xor_b32_e32 v26, s4, v26
	v_and_b32_e32 v29, v29, v26
	v_lshlrev_b32_e32 v26, 29, v27
	v_cmp_gt_i64_e64 s[4:5], 0, v[25:26]
	v_not_b32_e32 v26, v26
	v_ashrrev_i32_e32 v26, 31, v26
	v_and_b32_e32 v30, v30, v31
	v_xor_b32_e32 v31, s5, v26
	v_xor_b32_e32 v26, s4, v26
	v_and_b32_e32 v29, v29, v26
	v_lshlrev_b32_e32 v26, 28, v27
	v_cmp_gt_i64_e64 s[4:5], 0, v[25:26]
	v_not_b32_e32 v26, v26
	v_ashrrev_i32_e32 v26, 31, v26
	v_and_b32_e32 v30, v30, v31
	v_xor_b32_e32 v31, s5, v26
	v_xor_b32_e32 v26, s4, v26
	v_and_b32_e32 v29, v29, v26
	v_lshlrev_b32_e32 v26, 27, v27
	v_cmp_gt_i64_e64 s[4:5], 0, v[25:26]
	v_not_b32_e32 v26, v26
	v_ashrrev_i32_e32 v26, 31, v26
	v_xor_b32_e32 v32, s4, v26
	v_and_b32_e32 v30, v30, v31
	v_xor_b32_e32 v31, s5, v26
	v_and_b32_e32 v29, v29, v32
	v_and_b32_e32 v26, v30, v31
	v_mbcnt_lo_u32_b32 v30, v29, 0
	v_mbcnt_hi_u32_b32 v30, v26, v30
	v_cmp_eq_u32_e64 s[4:5], 0, v30
	s_and_saveexec_b64 s[8:9], s[4:5]
; %bb.17:
	v_bcnt_u32_b32 v29, v29, 0
	v_lshlrev_b32_e32 v27, 2, v27
	v_bcnt_u32_b32 v26, v26, v29
	ds_add_u32 v27, v26
; %bb.18:
	s_or_b64 exec, exec, s[8:9]
	v_and_b32_e32 v26, 1, v28
	v_add_co_u32_e64 v27, s[4:5], -1, v26
	v_addc_co_u32_e64 v29, s[4:5], 0, -1, s[4:5]
	v_cmp_ne_u32_e64 s[4:5], 0, v26
	v_xor_b32_e32 v26, s5, v29
	v_and_b32_e32 v29, exec_hi, v26
	v_lshlrev_b32_e32 v26, 30, v28
	v_xor_b32_e32 v27, s4, v27
	v_cmp_gt_i64_e64 s[4:5], 0, v[25:26]
	v_not_b32_e32 v26, v26
	v_ashrrev_i32_e32 v26, 31, v26
	v_and_b32_e32 v27, exec_lo, v27
	v_xor_b32_e32 v30, s5, v26
	v_xor_b32_e32 v26, s4, v26
	v_and_b32_e32 v27, v27, v26
	v_lshlrev_b32_e32 v26, 29, v28
	v_cmp_gt_i64_e64 s[4:5], 0, v[25:26]
	v_not_b32_e32 v26, v26
	v_ashrrev_i32_e32 v26, 31, v26
	v_and_b32_e32 v29, v29, v30
	v_xor_b32_e32 v30, s5, v26
	v_xor_b32_e32 v26, s4, v26
	v_and_b32_e32 v27, v27, v26
	v_lshlrev_b32_e32 v26, 28, v28
	v_cmp_gt_i64_e64 s[4:5], 0, v[25:26]
	v_not_b32_e32 v26, v26
	v_ashrrev_i32_e32 v26, 31, v26
	v_and_b32_e32 v29, v29, v30
	;; [unrolled: 8-line block ×3, first 2 shown]
	v_xor_b32_e32 v26, s5, v25
	v_xor_b32_e32 v30, s4, v25
	v_and_b32_e32 v25, v29, v26
	v_and_b32_e32 v26, v27, v30
	v_mbcnt_lo_u32_b32 v27, v26, 0
	v_mbcnt_hi_u32_b32 v27, v25, v27
	v_cmp_eq_u32_e64 s[4:5], 0, v27
	s_and_saveexec_b64 s[8:9], s[4:5]
; %bb.19:
	v_bcnt_u32_b32 v26, v26, 0
	v_lshlrev_b32_e32 v27, 2, v28
	v_bcnt_u32_b32 v25, v25, v26
	ds_add_u32 v27, v25
; %bb.20:
	s_or_b64 exec, exec, s[8:9]
	v_and_b32_e32 v26, 1, v21
	v_add_co_u32_e64 v27, s[4:5], -1, v26
	v_addc_co_u32_e64 v28, s[4:5], 0, -1, s[4:5]
	v_cmp_ne_u32_e64 s[4:5], 0, v26
	v_xor_b32_e32 v26, s5, v28
	v_mov_b32_e32 v25, 0
	v_and_b32_e32 v28, exec_hi, v26
	v_lshlrev_b32_e32 v26, 30, v21
	v_xor_b32_e32 v27, s4, v27
	v_cmp_gt_i64_e64 s[4:5], 0, v[25:26]
	v_not_b32_e32 v26, v26
	v_ashrrev_i32_e32 v26, 31, v26
	v_and_b32_e32 v27, exec_lo, v27
	v_xor_b32_e32 v29, s5, v26
	v_xor_b32_e32 v26, s4, v26
	v_and_b32_e32 v27, v27, v26
	v_lshlrev_b32_e32 v26, 29, v21
	v_cmp_gt_i64_e64 s[4:5], 0, v[25:26]
	v_not_b32_e32 v26, v26
	v_ashrrev_i32_e32 v26, 31, v26
	v_and_b32_e32 v28, v28, v29
	v_xor_b32_e32 v29, s5, v26
	v_xor_b32_e32 v26, s4, v26
	v_and_b32_e32 v27, v27, v26
	v_lshlrev_b32_e32 v26, 28, v21
	v_cmp_gt_i64_e64 s[4:5], 0, v[25:26]
	v_not_b32_e32 v26, v26
	v_ashrrev_i32_e32 v26, 31, v26
	v_and_b32_e32 v28, v28, v29
	v_xor_b32_e32 v29, s5, v26
	v_xor_b32_e32 v26, s4, v26
	v_and_b32_e32 v27, v27, v26
	v_lshlrev_b32_e32 v26, 27, v21
	v_cmp_gt_i64_e64 s[4:5], 0, v[25:26]
	v_not_b32_e32 v26, v26
	v_ashrrev_i32_e32 v26, 31, v26
	v_xor_b32_e32 v30, s4, v26
	v_and_b32_e32 v28, v28, v29
	v_xor_b32_e32 v29, s5, v26
	v_and_b32_e32 v27, v27, v30
	v_and_b32_e32 v26, v28, v29
	v_mbcnt_lo_u32_b32 v28, v27, 0
	v_mbcnt_hi_u32_b32 v28, v26, v28
	v_cmp_eq_u32_e64 s[4:5], 0, v28
	s_and_saveexec_b64 s[8:9], s[4:5]
; %bb.21:
	v_bcnt_u32_b32 v27, v27, 0
	v_lshlrev_b32_e32 v21, 2, v21
	v_bcnt_u32_b32 v26, v26, v27
	ds_add_u32 v21, v26
; %bb.22:
	s_or_b64 exec, exec, s[8:9]
	v_and_b32_e32 v21, 1, v22
	v_add_co_u32_e64 v26, s[4:5], -1, v21
	v_addc_co_u32_e64 v27, s[4:5], 0, -1, s[4:5]
	v_cmp_ne_u32_e64 s[4:5], 0, v21
	v_xor_b32_e32 v26, s4, v26
	v_xor_b32_e32 v21, s5, v27
	v_and_b32_e32 v27, exec_lo, v26
	v_lshlrev_b32_e32 v26, 30, v22
	v_cmp_gt_i64_e64 s[4:5], 0, v[25:26]
	v_not_b32_e32 v26, v26
	v_ashrrev_i32_e32 v26, 31, v26
	v_xor_b32_e32 v28, s5, v26
	v_xor_b32_e32 v26, s4, v26
	v_and_b32_e32 v27, v27, v26
	v_lshlrev_b32_e32 v26, 29, v22
	v_cmp_gt_i64_e64 s[4:5], 0, v[25:26]
	v_not_b32_e32 v26, v26
	v_and_b32_e32 v21, exec_hi, v21
	v_ashrrev_i32_e32 v26, 31, v26
	v_and_b32_e32 v21, v21, v28
	v_xor_b32_e32 v28, s5, v26
	v_xor_b32_e32 v26, s4, v26
	v_and_b32_e32 v27, v27, v26
	v_lshlrev_b32_e32 v26, 28, v22
	v_cmp_gt_i64_e64 s[4:5], 0, v[25:26]
	v_not_b32_e32 v26, v26
	v_ashrrev_i32_e32 v26, 31, v26
	v_and_b32_e32 v21, v21, v28
	v_xor_b32_e32 v28, s5, v26
	v_xor_b32_e32 v26, s4, v26
	v_and_b32_e32 v27, v27, v26
	v_lshlrev_b32_e32 v26, 27, v22
	v_cmp_gt_i64_e64 s[4:5], 0, v[25:26]
	v_not_b32_e32 v25, v26
	v_ashrrev_i32_e32 v25, 31, v25
	v_xor_b32_e32 v26, s5, v25
	v_xor_b32_e32 v25, s4, v25
	v_and_b32_e32 v21, v21, v28
	v_and_b32_e32 v25, v27, v25
	;; [unrolled: 1-line block ×3, first 2 shown]
	v_mbcnt_lo_u32_b32 v26, v25, 0
	v_mbcnt_hi_u32_b32 v26, v21, v26
	v_cmp_eq_u32_e64 s[4:5], 0, v26
	s_and_saveexec_b64 s[8:9], s[4:5]
; %bb.23:
	v_bcnt_u32_b32 v25, v25, 0
	v_lshlrev_b32_e32 v22, 2, v22
	v_bcnt_u32_b32 v21, v21, v25
	ds_add_u32 v22, v21
; %bb.24:
	s_or_b64 exec, exec, s[8:9]
	v_and_b32_e32 v22, 1, v23
	v_add_co_u32_e64 v25, s[4:5], -1, v22
	v_addc_co_u32_e64 v26, s[4:5], 0, -1, s[4:5]
	v_cmp_ne_u32_e64 s[4:5], 0, v22
	v_xor_b32_e32 v22, s5, v26
	v_mov_b32_e32 v21, 0
	v_and_b32_e32 v26, exec_hi, v22
	v_lshlrev_b32_e32 v22, 30, v23
	v_xor_b32_e32 v25, s4, v25
	v_cmp_gt_i64_e64 s[4:5], 0, v[21:22]
	v_not_b32_e32 v22, v22
	v_ashrrev_i32_e32 v22, 31, v22
	v_and_b32_e32 v25, exec_lo, v25
	v_xor_b32_e32 v27, s5, v22
	v_xor_b32_e32 v22, s4, v22
	v_and_b32_e32 v25, v25, v22
	v_lshlrev_b32_e32 v22, 29, v23
	v_cmp_gt_i64_e64 s[4:5], 0, v[21:22]
	v_not_b32_e32 v22, v22
	v_ashrrev_i32_e32 v22, 31, v22
	v_and_b32_e32 v26, v26, v27
	v_xor_b32_e32 v27, s5, v22
	v_xor_b32_e32 v22, s4, v22
	v_and_b32_e32 v25, v25, v22
	v_lshlrev_b32_e32 v22, 28, v23
	v_cmp_gt_i64_e64 s[4:5], 0, v[21:22]
	v_not_b32_e32 v22, v22
	v_ashrrev_i32_e32 v22, 31, v22
	v_and_b32_e32 v26, v26, v27
	v_xor_b32_e32 v27, s5, v22
	v_xor_b32_e32 v22, s4, v22
	v_and_b32_e32 v25, v25, v22
	v_lshlrev_b32_e32 v22, 27, v23
	v_cmp_gt_i64_e64 s[4:5], 0, v[21:22]
	v_not_b32_e32 v22, v22
	v_ashrrev_i32_e32 v22, 31, v22
	v_xor_b32_e32 v28, s4, v22
	v_and_b32_e32 v26, v26, v27
	v_xor_b32_e32 v27, s5, v22
	v_and_b32_e32 v25, v25, v28
	v_and_b32_e32 v22, v26, v27
	v_mbcnt_lo_u32_b32 v26, v25, 0
	v_mbcnt_hi_u32_b32 v26, v22, v26
	v_cmp_eq_u32_e64 s[4:5], 0, v26
	s_and_saveexec_b64 s[8:9], s[4:5]
; %bb.25:
	v_bcnt_u32_b32 v25, v25, 0
	v_lshlrev_b32_e32 v23, 2, v23
	v_bcnt_u32_b32 v22, v22, v25
	ds_add_u32 v23, v22
; %bb.26:
	s_or_b64 exec, exec, s[8:9]
	v_and_b32_e32 v22, 1, v24
	v_add_co_u32_e64 v23, s[4:5], -1, v22
	v_addc_co_u32_e64 v25, s[4:5], 0, -1, s[4:5]
	v_cmp_ne_u32_e64 s[4:5], 0, v22
	v_xor_b32_e32 v22, s5, v25
	v_and_b32_e32 v25, exec_hi, v22
	v_lshlrev_b32_e32 v22, 30, v24
	v_xor_b32_e32 v23, s4, v23
	v_cmp_gt_i64_e64 s[4:5], 0, v[21:22]
	v_not_b32_e32 v22, v22
	v_ashrrev_i32_e32 v22, 31, v22
	v_and_b32_e32 v23, exec_lo, v23
	v_xor_b32_e32 v26, s5, v22
	v_xor_b32_e32 v22, s4, v22
	v_and_b32_e32 v23, v23, v22
	v_lshlrev_b32_e32 v22, 29, v24
	v_cmp_gt_i64_e64 s[4:5], 0, v[21:22]
	v_not_b32_e32 v22, v22
	v_ashrrev_i32_e32 v22, 31, v22
	v_and_b32_e32 v25, v25, v26
	v_xor_b32_e32 v26, s5, v22
	v_xor_b32_e32 v22, s4, v22
	v_and_b32_e32 v23, v23, v22
	v_lshlrev_b32_e32 v22, 28, v24
	v_cmp_gt_i64_e64 s[4:5], 0, v[21:22]
	v_not_b32_e32 v22, v22
	v_ashrrev_i32_e32 v22, 31, v22
	v_and_b32_e32 v25, v25, v26
	;; [unrolled: 8-line block ×3, first 2 shown]
	v_xor_b32_e32 v22, s5, v21
	v_xor_b32_e32 v26, s4, v21
	v_and_b32_e32 v21, v25, v22
	v_and_b32_e32 v22, v23, v26
	v_mbcnt_lo_u32_b32 v23, v22, 0
	v_mbcnt_hi_u32_b32 v23, v21, v23
	v_cmp_eq_u32_e64 s[4:5], 0, v23
	s_and_saveexec_b64 s[8:9], s[4:5]
; %bb.27:
	v_bcnt_u32_b32 v22, v22, 0
	v_lshlrev_b32_e32 v23, 2, v24
	v_bcnt_u32_b32 v21, v21, v22
	ds_add_u32 v23, v21
; %bb.28:
	s_or_b64 exec, exec, s[8:9]
	v_and_b32_e32 v22, 1, v17
	v_add_co_u32_e64 v23, s[4:5], -1, v22
	v_addc_co_u32_e64 v24, s[4:5], 0, -1, s[4:5]
	v_cmp_ne_u32_e64 s[4:5], 0, v22
	v_xor_b32_e32 v22, s5, v24
	v_mov_b32_e32 v21, 0
	v_and_b32_e32 v24, exec_hi, v22
	v_lshlrev_b32_e32 v22, 30, v17
	v_xor_b32_e32 v23, s4, v23
	v_cmp_gt_i64_e64 s[4:5], 0, v[21:22]
	v_not_b32_e32 v22, v22
	v_ashrrev_i32_e32 v22, 31, v22
	v_and_b32_e32 v23, exec_lo, v23
	v_xor_b32_e32 v25, s5, v22
	v_xor_b32_e32 v22, s4, v22
	v_and_b32_e32 v23, v23, v22
	v_lshlrev_b32_e32 v22, 29, v17
	v_cmp_gt_i64_e64 s[4:5], 0, v[21:22]
	v_not_b32_e32 v22, v22
	v_ashrrev_i32_e32 v22, 31, v22
	v_and_b32_e32 v24, v24, v25
	v_xor_b32_e32 v25, s5, v22
	v_xor_b32_e32 v22, s4, v22
	v_and_b32_e32 v23, v23, v22
	v_lshlrev_b32_e32 v22, 28, v17
	v_cmp_gt_i64_e64 s[4:5], 0, v[21:22]
	v_not_b32_e32 v22, v22
	v_ashrrev_i32_e32 v22, 31, v22
	v_and_b32_e32 v24, v24, v25
	v_xor_b32_e32 v25, s5, v22
	v_xor_b32_e32 v22, s4, v22
	v_and_b32_e32 v23, v23, v22
	v_lshlrev_b32_e32 v22, 27, v17
	v_cmp_gt_i64_e64 s[4:5], 0, v[21:22]
	v_not_b32_e32 v22, v22
	v_ashrrev_i32_e32 v22, 31, v22
	v_xor_b32_e32 v26, s4, v22
	v_and_b32_e32 v24, v24, v25
	v_xor_b32_e32 v25, s5, v22
	v_and_b32_e32 v23, v23, v26
	v_and_b32_e32 v22, v24, v25
	v_mbcnt_lo_u32_b32 v24, v23, 0
	v_mbcnt_hi_u32_b32 v24, v22, v24
	v_cmp_eq_u32_e64 s[4:5], 0, v24
	s_and_saveexec_b64 s[8:9], s[4:5]
; %bb.29:
	v_bcnt_u32_b32 v23, v23, 0
	v_lshlrev_b32_e32 v17, 2, v17
	v_bcnt_u32_b32 v22, v22, v23
	ds_add_u32 v17, v22
; %bb.30:
	s_or_b64 exec, exec, s[8:9]
	v_and_b32_e32 v17, 1, v18
	v_add_co_u32_e64 v22, s[4:5], -1, v17
	v_addc_co_u32_e64 v23, s[4:5], 0, -1, s[4:5]
	v_cmp_ne_u32_e64 s[4:5], 0, v17
	v_xor_b32_e32 v22, s4, v22
	v_xor_b32_e32 v17, s5, v23
	v_and_b32_e32 v23, exec_lo, v22
	v_lshlrev_b32_e32 v22, 30, v18
	v_cmp_gt_i64_e64 s[4:5], 0, v[21:22]
	v_not_b32_e32 v22, v22
	v_ashrrev_i32_e32 v22, 31, v22
	v_xor_b32_e32 v24, s5, v22
	v_xor_b32_e32 v22, s4, v22
	v_and_b32_e32 v23, v23, v22
	v_lshlrev_b32_e32 v22, 29, v18
	v_cmp_gt_i64_e64 s[4:5], 0, v[21:22]
	v_not_b32_e32 v22, v22
	v_and_b32_e32 v17, exec_hi, v17
	v_ashrrev_i32_e32 v22, 31, v22
	v_and_b32_e32 v17, v17, v24
	v_xor_b32_e32 v24, s5, v22
	v_xor_b32_e32 v22, s4, v22
	v_and_b32_e32 v23, v23, v22
	v_lshlrev_b32_e32 v22, 28, v18
	v_cmp_gt_i64_e64 s[4:5], 0, v[21:22]
	v_not_b32_e32 v22, v22
	v_ashrrev_i32_e32 v22, 31, v22
	v_and_b32_e32 v17, v17, v24
	v_xor_b32_e32 v24, s5, v22
	v_xor_b32_e32 v22, s4, v22
	v_and_b32_e32 v23, v23, v22
	v_lshlrev_b32_e32 v22, 27, v18
	v_cmp_gt_i64_e64 s[4:5], 0, v[21:22]
	v_not_b32_e32 v21, v22
	v_ashrrev_i32_e32 v21, 31, v21
	v_xor_b32_e32 v22, s5, v21
	v_xor_b32_e32 v21, s4, v21
	v_and_b32_e32 v17, v17, v24
	v_and_b32_e32 v21, v23, v21
	;; [unrolled: 1-line block ×3, first 2 shown]
	v_mbcnt_lo_u32_b32 v22, v21, 0
	v_mbcnt_hi_u32_b32 v22, v17, v22
	v_cmp_eq_u32_e64 s[4:5], 0, v22
	s_and_saveexec_b64 s[8:9], s[4:5]
; %bb.31:
	v_bcnt_u32_b32 v21, v21, 0
	v_lshlrev_b32_e32 v18, 2, v18
	v_bcnt_u32_b32 v17, v17, v21
	ds_add_u32 v18, v17
; %bb.32:
	s_or_b64 exec, exec, s[8:9]
	v_and_b32_e32 v18, 1, v19
	v_add_co_u32_e64 v21, s[4:5], -1, v18
	v_addc_co_u32_e64 v22, s[4:5], 0, -1, s[4:5]
	v_cmp_ne_u32_e64 s[4:5], 0, v18
	v_xor_b32_e32 v18, s5, v22
	v_mov_b32_e32 v17, 0
	v_and_b32_e32 v22, exec_hi, v18
	v_lshlrev_b32_e32 v18, 30, v19
	v_xor_b32_e32 v21, s4, v21
	v_cmp_gt_i64_e64 s[4:5], 0, v[17:18]
	v_not_b32_e32 v18, v18
	v_ashrrev_i32_e32 v18, 31, v18
	v_and_b32_e32 v21, exec_lo, v21
	v_xor_b32_e32 v23, s5, v18
	v_xor_b32_e32 v18, s4, v18
	v_and_b32_e32 v21, v21, v18
	v_lshlrev_b32_e32 v18, 29, v19
	v_cmp_gt_i64_e64 s[4:5], 0, v[17:18]
	v_not_b32_e32 v18, v18
	v_ashrrev_i32_e32 v18, 31, v18
	v_and_b32_e32 v22, v22, v23
	v_xor_b32_e32 v23, s5, v18
	v_xor_b32_e32 v18, s4, v18
	v_and_b32_e32 v21, v21, v18
	v_lshlrev_b32_e32 v18, 28, v19
	v_cmp_gt_i64_e64 s[4:5], 0, v[17:18]
	v_not_b32_e32 v18, v18
	v_ashrrev_i32_e32 v18, 31, v18
	v_and_b32_e32 v22, v22, v23
	v_xor_b32_e32 v23, s5, v18
	v_xor_b32_e32 v18, s4, v18
	v_and_b32_e32 v21, v21, v18
	v_lshlrev_b32_e32 v18, 27, v19
	v_cmp_gt_i64_e64 s[4:5], 0, v[17:18]
	v_not_b32_e32 v18, v18
	v_ashrrev_i32_e32 v18, 31, v18
	v_xor_b32_e32 v24, s4, v18
	v_and_b32_e32 v22, v22, v23
	v_xor_b32_e32 v23, s5, v18
	v_and_b32_e32 v21, v21, v24
	v_and_b32_e32 v18, v22, v23
	v_mbcnt_lo_u32_b32 v22, v21, 0
	v_mbcnt_hi_u32_b32 v22, v18, v22
	v_cmp_eq_u32_e64 s[4:5], 0, v22
	s_and_saveexec_b64 s[8:9], s[4:5]
; %bb.33:
	v_bcnt_u32_b32 v21, v21, 0
	v_lshlrev_b32_e32 v19, 2, v19
	v_bcnt_u32_b32 v18, v18, v21
	ds_add_u32 v19, v18
; %bb.34:
	s_or_b64 exec, exec, s[8:9]
	v_and_b32_e32 v18, 1, v20
	v_add_co_u32_e64 v19, s[4:5], -1, v18
	v_addc_co_u32_e64 v21, s[4:5], 0, -1, s[4:5]
	v_cmp_ne_u32_e64 s[4:5], 0, v18
	v_xor_b32_e32 v18, s5, v21
	v_and_b32_e32 v21, exec_hi, v18
	v_lshlrev_b32_e32 v18, 30, v20
	v_xor_b32_e32 v19, s4, v19
	v_cmp_gt_i64_e64 s[4:5], 0, v[17:18]
	v_not_b32_e32 v18, v18
	v_ashrrev_i32_e32 v18, 31, v18
	v_and_b32_e32 v19, exec_lo, v19
	v_xor_b32_e32 v22, s5, v18
	v_xor_b32_e32 v18, s4, v18
	v_and_b32_e32 v19, v19, v18
	v_lshlrev_b32_e32 v18, 29, v20
	v_cmp_gt_i64_e64 s[4:5], 0, v[17:18]
	v_not_b32_e32 v18, v18
	v_ashrrev_i32_e32 v18, 31, v18
	v_and_b32_e32 v21, v21, v22
	v_xor_b32_e32 v22, s5, v18
	v_xor_b32_e32 v18, s4, v18
	v_and_b32_e32 v19, v19, v18
	v_lshlrev_b32_e32 v18, 28, v20
	v_cmp_gt_i64_e64 s[4:5], 0, v[17:18]
	v_not_b32_e32 v18, v18
	v_ashrrev_i32_e32 v18, 31, v18
	v_and_b32_e32 v21, v21, v22
	;; [unrolled: 8-line block ×3, first 2 shown]
	v_xor_b32_e32 v18, s5, v17
	v_xor_b32_e32 v22, s4, v17
	v_and_b32_e32 v17, v21, v18
	v_and_b32_e32 v18, v19, v22
	v_mbcnt_lo_u32_b32 v19, v18, 0
	v_mbcnt_hi_u32_b32 v19, v17, v19
	v_cmp_eq_u32_e64 s[4:5], 0, v19
	s_and_saveexec_b64 s[8:9], s[4:5]
; %bb.35:
	v_bcnt_u32_b32 v18, v18, 0
	v_lshlrev_b32_e32 v19, 2, v20
	v_bcnt_u32_b32 v17, v17, v18
	ds_add_u32 v19, v17
; %bb.36:
	s_or_b64 exec, exec, s[8:9]
	s_waitcnt vmcnt(0)
	v_and_b32_e32 v18, 1, v13
	v_add_co_u32_e64 v19, s[4:5], -1, v18
	v_addc_co_u32_e64 v20, s[4:5], 0, -1, s[4:5]
	v_cmp_ne_u32_e64 s[4:5], 0, v18
	v_xor_b32_e32 v18, s5, v20
	v_mov_b32_e32 v17, 0
	v_and_b32_e32 v20, exec_hi, v18
	v_lshlrev_b32_e32 v18, 30, v13
	v_xor_b32_e32 v19, s4, v19
	v_cmp_gt_i64_e64 s[4:5], 0, v[17:18]
	v_not_b32_e32 v18, v18
	v_ashrrev_i32_e32 v18, 31, v18
	v_and_b32_e32 v19, exec_lo, v19
	v_xor_b32_e32 v21, s5, v18
	v_xor_b32_e32 v18, s4, v18
	v_and_b32_e32 v19, v19, v18
	v_lshlrev_b32_e32 v18, 29, v13
	v_cmp_gt_i64_e64 s[4:5], 0, v[17:18]
	v_not_b32_e32 v18, v18
	v_ashrrev_i32_e32 v18, 31, v18
	v_and_b32_e32 v20, v20, v21
	v_xor_b32_e32 v21, s5, v18
	v_xor_b32_e32 v18, s4, v18
	v_and_b32_e32 v19, v19, v18
	v_lshlrev_b32_e32 v18, 28, v13
	v_cmp_gt_i64_e64 s[4:5], 0, v[17:18]
	v_not_b32_e32 v18, v18
	v_ashrrev_i32_e32 v18, 31, v18
	v_and_b32_e32 v20, v20, v21
	v_xor_b32_e32 v21, s5, v18
	v_xor_b32_e32 v18, s4, v18
	v_and_b32_e32 v19, v19, v18
	v_lshlrev_b32_e32 v18, 27, v13
	v_cmp_gt_i64_e64 s[4:5], 0, v[17:18]
	v_not_b32_e32 v18, v18
	v_ashrrev_i32_e32 v18, 31, v18
	v_xor_b32_e32 v22, s4, v18
	v_and_b32_e32 v20, v20, v21
	v_xor_b32_e32 v21, s5, v18
	v_and_b32_e32 v19, v19, v22
	v_and_b32_e32 v18, v20, v21
	v_mbcnt_lo_u32_b32 v20, v19, 0
	v_mbcnt_hi_u32_b32 v20, v18, v20
	v_cmp_eq_u32_e64 s[4:5], 0, v20
	s_and_saveexec_b64 s[8:9], s[4:5]
; %bb.37:
	v_bcnt_u32_b32 v19, v19, 0
	v_lshlrev_b32_e32 v13, 2, v13
	v_bcnt_u32_b32 v18, v18, v19
	ds_add_u32 v13, v18
; %bb.38:
	s_or_b64 exec, exec, s[8:9]
	v_and_b32_e32 v13, 1, v14
	v_add_co_u32_e64 v18, s[4:5], -1, v13
	v_addc_co_u32_e64 v19, s[4:5], 0, -1, s[4:5]
	v_cmp_ne_u32_e64 s[4:5], 0, v13
	v_xor_b32_e32 v18, s4, v18
	v_xor_b32_e32 v13, s5, v19
	v_and_b32_e32 v19, exec_lo, v18
	v_lshlrev_b32_e32 v18, 30, v14
	v_cmp_gt_i64_e64 s[4:5], 0, v[17:18]
	v_not_b32_e32 v18, v18
	v_ashrrev_i32_e32 v18, 31, v18
	v_xor_b32_e32 v20, s5, v18
	v_xor_b32_e32 v18, s4, v18
	v_and_b32_e32 v19, v19, v18
	v_lshlrev_b32_e32 v18, 29, v14
	v_cmp_gt_i64_e64 s[4:5], 0, v[17:18]
	v_not_b32_e32 v18, v18
	v_and_b32_e32 v13, exec_hi, v13
	v_ashrrev_i32_e32 v18, 31, v18
	v_and_b32_e32 v13, v13, v20
	v_xor_b32_e32 v20, s5, v18
	v_xor_b32_e32 v18, s4, v18
	v_and_b32_e32 v19, v19, v18
	v_lshlrev_b32_e32 v18, 28, v14
	v_cmp_gt_i64_e64 s[4:5], 0, v[17:18]
	v_not_b32_e32 v18, v18
	v_ashrrev_i32_e32 v18, 31, v18
	v_and_b32_e32 v13, v13, v20
	v_xor_b32_e32 v20, s5, v18
	v_xor_b32_e32 v18, s4, v18
	v_and_b32_e32 v19, v19, v18
	v_lshlrev_b32_e32 v18, 27, v14
	v_cmp_gt_i64_e64 s[4:5], 0, v[17:18]
	v_not_b32_e32 v17, v18
	v_ashrrev_i32_e32 v17, 31, v17
	v_xor_b32_e32 v18, s5, v17
	v_xor_b32_e32 v17, s4, v17
	v_and_b32_e32 v13, v13, v20
	v_and_b32_e32 v17, v19, v17
	;; [unrolled: 1-line block ×3, first 2 shown]
	v_mbcnt_lo_u32_b32 v18, v17, 0
	v_mbcnt_hi_u32_b32 v18, v13, v18
	v_cmp_eq_u32_e64 s[4:5], 0, v18
	s_and_saveexec_b64 s[8:9], s[4:5]
; %bb.39:
	v_bcnt_u32_b32 v17, v17, 0
	v_lshlrev_b32_e32 v14, 2, v14
	v_bcnt_u32_b32 v13, v13, v17
	ds_add_u32 v14, v13
; %bb.40:
	s_or_b64 exec, exec, s[8:9]
	v_and_b32_e32 v14, 1, v15
	v_add_co_u32_e64 v17, s[4:5], -1, v14
	v_addc_co_u32_e64 v18, s[4:5], 0, -1, s[4:5]
	v_cmp_ne_u32_e64 s[4:5], 0, v14
	v_xor_b32_e32 v14, s5, v18
	v_mov_b32_e32 v13, 0
	v_and_b32_e32 v18, exec_hi, v14
	v_lshlrev_b32_e32 v14, 30, v15
	v_xor_b32_e32 v17, s4, v17
	v_cmp_gt_i64_e64 s[4:5], 0, v[13:14]
	v_not_b32_e32 v14, v14
	v_ashrrev_i32_e32 v14, 31, v14
	v_and_b32_e32 v17, exec_lo, v17
	v_xor_b32_e32 v19, s5, v14
	v_xor_b32_e32 v14, s4, v14
	v_and_b32_e32 v17, v17, v14
	v_lshlrev_b32_e32 v14, 29, v15
	v_cmp_gt_i64_e64 s[4:5], 0, v[13:14]
	v_not_b32_e32 v14, v14
	v_ashrrev_i32_e32 v14, 31, v14
	v_and_b32_e32 v18, v18, v19
	v_xor_b32_e32 v19, s5, v14
	v_xor_b32_e32 v14, s4, v14
	v_and_b32_e32 v17, v17, v14
	v_lshlrev_b32_e32 v14, 28, v15
	v_cmp_gt_i64_e64 s[4:5], 0, v[13:14]
	v_not_b32_e32 v14, v14
	v_ashrrev_i32_e32 v14, 31, v14
	v_and_b32_e32 v18, v18, v19
	v_xor_b32_e32 v19, s5, v14
	v_xor_b32_e32 v14, s4, v14
	v_and_b32_e32 v17, v17, v14
	v_lshlrev_b32_e32 v14, 27, v15
	v_cmp_gt_i64_e64 s[4:5], 0, v[13:14]
	v_not_b32_e32 v14, v14
	v_ashrrev_i32_e32 v14, 31, v14
	v_xor_b32_e32 v20, s4, v14
	v_and_b32_e32 v18, v18, v19
	v_xor_b32_e32 v19, s5, v14
	v_and_b32_e32 v17, v17, v20
	v_and_b32_e32 v14, v18, v19
	v_mbcnt_lo_u32_b32 v18, v17, 0
	v_mbcnt_hi_u32_b32 v18, v14, v18
	v_cmp_eq_u32_e64 s[4:5], 0, v18
	s_and_saveexec_b64 s[8:9], s[4:5]
; %bb.41:
	v_bcnt_u32_b32 v17, v17, 0
	v_lshlrev_b32_e32 v15, 2, v15
	v_bcnt_u32_b32 v14, v14, v17
	ds_add_u32 v15, v14
; %bb.42:
	s_or_b64 exec, exec, s[8:9]
	v_and_b32_e32 v14, 1, v16
	v_add_co_u32_e64 v15, s[4:5], -1, v14
	v_addc_co_u32_e64 v17, s[4:5], 0, -1, s[4:5]
	v_cmp_ne_u32_e64 s[4:5], 0, v14
	v_xor_b32_e32 v14, s5, v17
	v_and_b32_e32 v17, exec_hi, v14
	v_lshlrev_b32_e32 v14, 30, v16
	v_xor_b32_e32 v15, s4, v15
	v_cmp_gt_i64_e64 s[4:5], 0, v[13:14]
	v_not_b32_e32 v14, v14
	v_ashrrev_i32_e32 v14, 31, v14
	v_and_b32_e32 v15, exec_lo, v15
	v_xor_b32_e32 v18, s5, v14
	v_xor_b32_e32 v14, s4, v14
	v_and_b32_e32 v15, v15, v14
	v_lshlrev_b32_e32 v14, 29, v16
	v_cmp_gt_i64_e64 s[4:5], 0, v[13:14]
	v_not_b32_e32 v14, v14
	v_ashrrev_i32_e32 v14, 31, v14
	v_and_b32_e32 v17, v17, v18
	v_xor_b32_e32 v18, s5, v14
	v_xor_b32_e32 v14, s4, v14
	v_and_b32_e32 v15, v15, v14
	v_lshlrev_b32_e32 v14, 28, v16
	v_cmp_gt_i64_e64 s[4:5], 0, v[13:14]
	v_not_b32_e32 v14, v14
	v_ashrrev_i32_e32 v14, 31, v14
	v_and_b32_e32 v17, v17, v18
	;; [unrolled: 8-line block ×3, first 2 shown]
	v_xor_b32_e32 v14, s5, v13
	v_xor_b32_e32 v18, s4, v13
	v_and_b32_e32 v13, v17, v14
	v_and_b32_e32 v14, v15, v18
	v_mbcnt_lo_u32_b32 v15, v14, 0
	v_mbcnt_hi_u32_b32 v15, v13, v15
	v_cmp_eq_u32_e64 s[4:5], 0, v15
	s_and_saveexec_b64 s[8:9], s[4:5]
; %bb.43:
	v_bcnt_u32_b32 v14, v14, 0
	v_lshlrev_b32_e32 v15, 2, v16
	v_bcnt_u32_b32 v13, v13, v14
	ds_add_u32 v15, v13
; %bb.44:
	s_or_b64 exec, exec, s[8:9]
	v_and_b32_e32 v14, 1, v9
	v_add_co_u32_e64 v15, s[4:5], -1, v14
	v_addc_co_u32_e64 v16, s[4:5], 0, -1, s[4:5]
	v_cmp_ne_u32_e64 s[4:5], 0, v14
	v_xor_b32_e32 v14, s5, v16
	v_mov_b32_e32 v13, 0
	v_and_b32_e32 v16, exec_hi, v14
	v_lshlrev_b32_e32 v14, 30, v9
	v_xor_b32_e32 v15, s4, v15
	v_cmp_gt_i64_e64 s[4:5], 0, v[13:14]
	v_not_b32_e32 v14, v14
	v_ashrrev_i32_e32 v14, 31, v14
	v_and_b32_e32 v15, exec_lo, v15
	v_xor_b32_e32 v17, s5, v14
	v_xor_b32_e32 v14, s4, v14
	v_and_b32_e32 v15, v15, v14
	v_lshlrev_b32_e32 v14, 29, v9
	v_cmp_gt_i64_e64 s[4:5], 0, v[13:14]
	v_not_b32_e32 v14, v14
	v_ashrrev_i32_e32 v14, 31, v14
	v_and_b32_e32 v16, v16, v17
	v_xor_b32_e32 v17, s5, v14
	v_xor_b32_e32 v14, s4, v14
	v_and_b32_e32 v15, v15, v14
	v_lshlrev_b32_e32 v14, 28, v9
	v_cmp_gt_i64_e64 s[4:5], 0, v[13:14]
	v_not_b32_e32 v14, v14
	v_ashrrev_i32_e32 v14, 31, v14
	v_and_b32_e32 v16, v16, v17
	v_xor_b32_e32 v17, s5, v14
	v_xor_b32_e32 v14, s4, v14
	v_and_b32_e32 v15, v15, v14
	v_lshlrev_b32_e32 v14, 27, v9
	v_cmp_gt_i64_e64 s[4:5], 0, v[13:14]
	v_not_b32_e32 v14, v14
	v_ashrrev_i32_e32 v14, 31, v14
	v_xor_b32_e32 v18, s4, v14
	v_and_b32_e32 v16, v16, v17
	v_xor_b32_e32 v17, s5, v14
	v_and_b32_e32 v15, v15, v18
	v_and_b32_e32 v14, v16, v17
	v_mbcnt_lo_u32_b32 v16, v15, 0
	v_mbcnt_hi_u32_b32 v16, v14, v16
	v_cmp_eq_u32_e64 s[4:5], 0, v16
	s_and_saveexec_b64 s[8:9], s[4:5]
; %bb.45:
	v_bcnt_u32_b32 v15, v15, 0
	v_lshlrev_b32_e32 v9, 2, v9
	v_bcnt_u32_b32 v14, v14, v15
	ds_add_u32 v9, v14
; %bb.46:
	s_or_b64 exec, exec, s[8:9]
	v_and_b32_e32 v9, 1, v10
	v_add_co_u32_e64 v14, s[4:5], -1, v9
	v_addc_co_u32_e64 v15, s[4:5], 0, -1, s[4:5]
	v_cmp_ne_u32_e64 s[4:5], 0, v9
	v_xor_b32_e32 v14, s4, v14
	v_xor_b32_e32 v9, s5, v15
	v_and_b32_e32 v15, exec_lo, v14
	v_lshlrev_b32_e32 v14, 30, v10
	v_cmp_gt_i64_e64 s[4:5], 0, v[13:14]
	v_not_b32_e32 v14, v14
	v_ashrrev_i32_e32 v14, 31, v14
	v_xor_b32_e32 v16, s5, v14
	v_xor_b32_e32 v14, s4, v14
	v_and_b32_e32 v15, v15, v14
	v_lshlrev_b32_e32 v14, 29, v10
	v_cmp_gt_i64_e64 s[4:5], 0, v[13:14]
	v_not_b32_e32 v14, v14
	v_and_b32_e32 v9, exec_hi, v9
	v_ashrrev_i32_e32 v14, 31, v14
	v_and_b32_e32 v9, v9, v16
	v_xor_b32_e32 v16, s5, v14
	v_xor_b32_e32 v14, s4, v14
	v_and_b32_e32 v15, v15, v14
	v_lshlrev_b32_e32 v14, 28, v10
	v_cmp_gt_i64_e64 s[4:5], 0, v[13:14]
	v_not_b32_e32 v14, v14
	v_ashrrev_i32_e32 v14, 31, v14
	v_and_b32_e32 v9, v9, v16
	v_xor_b32_e32 v16, s5, v14
	v_xor_b32_e32 v14, s4, v14
	v_and_b32_e32 v15, v15, v14
	v_lshlrev_b32_e32 v14, 27, v10
	v_cmp_gt_i64_e64 s[4:5], 0, v[13:14]
	v_not_b32_e32 v13, v14
	v_ashrrev_i32_e32 v13, 31, v13
	v_xor_b32_e32 v14, s5, v13
	v_xor_b32_e32 v13, s4, v13
	v_and_b32_e32 v9, v9, v16
	v_and_b32_e32 v13, v15, v13
	;; [unrolled: 1-line block ×3, first 2 shown]
	v_mbcnt_lo_u32_b32 v14, v13, 0
	v_mbcnt_hi_u32_b32 v14, v9, v14
	v_cmp_eq_u32_e64 s[4:5], 0, v14
	s_and_saveexec_b64 s[8:9], s[4:5]
; %bb.47:
	v_bcnt_u32_b32 v13, v13, 0
	v_lshlrev_b32_e32 v10, 2, v10
	v_bcnt_u32_b32 v9, v9, v13
	ds_add_u32 v10, v9
; %bb.48:
	s_or_b64 exec, exec, s[8:9]
	v_and_b32_e32 v10, 1, v11
	v_add_co_u32_e64 v13, s[4:5], -1, v10
	v_addc_co_u32_e64 v14, s[4:5], 0, -1, s[4:5]
	v_cmp_ne_u32_e64 s[4:5], 0, v10
	v_xor_b32_e32 v10, s5, v14
	v_mov_b32_e32 v9, 0
	v_and_b32_e32 v14, exec_hi, v10
	v_lshlrev_b32_e32 v10, 30, v11
	v_xor_b32_e32 v13, s4, v13
	v_cmp_gt_i64_e64 s[4:5], 0, v[9:10]
	v_not_b32_e32 v10, v10
	v_ashrrev_i32_e32 v10, 31, v10
	v_and_b32_e32 v13, exec_lo, v13
	v_xor_b32_e32 v15, s5, v10
	v_xor_b32_e32 v10, s4, v10
	v_and_b32_e32 v13, v13, v10
	v_lshlrev_b32_e32 v10, 29, v11
	v_cmp_gt_i64_e64 s[4:5], 0, v[9:10]
	v_not_b32_e32 v10, v10
	v_ashrrev_i32_e32 v10, 31, v10
	v_and_b32_e32 v14, v14, v15
	v_xor_b32_e32 v15, s5, v10
	v_xor_b32_e32 v10, s4, v10
	v_and_b32_e32 v13, v13, v10
	v_lshlrev_b32_e32 v10, 28, v11
	v_cmp_gt_i64_e64 s[4:5], 0, v[9:10]
	v_not_b32_e32 v10, v10
	v_ashrrev_i32_e32 v10, 31, v10
	v_and_b32_e32 v14, v14, v15
	v_xor_b32_e32 v15, s5, v10
	v_xor_b32_e32 v10, s4, v10
	v_and_b32_e32 v13, v13, v10
	v_lshlrev_b32_e32 v10, 27, v11
	v_cmp_gt_i64_e64 s[4:5], 0, v[9:10]
	v_not_b32_e32 v10, v10
	v_ashrrev_i32_e32 v10, 31, v10
	v_xor_b32_e32 v16, s4, v10
	v_and_b32_e32 v14, v14, v15
	v_xor_b32_e32 v15, s5, v10
	v_and_b32_e32 v13, v13, v16
	v_and_b32_e32 v10, v14, v15
	v_mbcnt_lo_u32_b32 v14, v13, 0
	v_mbcnt_hi_u32_b32 v14, v10, v14
	v_cmp_eq_u32_e64 s[4:5], 0, v14
	s_and_saveexec_b64 s[8:9], s[4:5]
; %bb.49:
	v_bcnt_u32_b32 v13, v13, 0
	v_lshlrev_b32_e32 v11, 2, v11
	v_bcnt_u32_b32 v10, v10, v13
	ds_add_u32 v11, v10
; %bb.50:
	s_or_b64 exec, exec, s[8:9]
	v_and_b32_e32 v10, 1, v12
	v_add_co_u32_e64 v11, s[4:5], -1, v10
	v_addc_co_u32_e64 v13, s[4:5], 0, -1, s[4:5]
	v_cmp_ne_u32_e64 s[4:5], 0, v10
	v_xor_b32_e32 v10, s5, v13
	v_and_b32_e32 v13, exec_hi, v10
	v_lshlrev_b32_e32 v10, 30, v12
	v_xor_b32_e32 v11, s4, v11
	v_cmp_gt_i64_e64 s[4:5], 0, v[9:10]
	v_not_b32_e32 v10, v10
	v_ashrrev_i32_e32 v10, 31, v10
	v_and_b32_e32 v11, exec_lo, v11
	v_xor_b32_e32 v14, s5, v10
	v_xor_b32_e32 v10, s4, v10
	v_and_b32_e32 v11, v11, v10
	v_lshlrev_b32_e32 v10, 29, v12
	v_cmp_gt_i64_e64 s[4:5], 0, v[9:10]
	v_not_b32_e32 v10, v10
	v_ashrrev_i32_e32 v10, 31, v10
	v_and_b32_e32 v13, v13, v14
	v_xor_b32_e32 v14, s5, v10
	v_xor_b32_e32 v10, s4, v10
	v_and_b32_e32 v11, v11, v10
	v_lshlrev_b32_e32 v10, 28, v12
	v_cmp_gt_i64_e64 s[4:5], 0, v[9:10]
	v_not_b32_e32 v10, v10
	v_ashrrev_i32_e32 v10, 31, v10
	v_and_b32_e32 v13, v13, v14
	;; [unrolled: 8-line block ×3, first 2 shown]
	v_xor_b32_e32 v10, s5, v9
	v_xor_b32_e32 v14, s4, v9
	v_and_b32_e32 v9, v13, v10
	v_and_b32_e32 v10, v11, v14
	v_mbcnt_lo_u32_b32 v11, v10, 0
	v_mbcnt_hi_u32_b32 v11, v9, v11
	v_cmp_eq_u32_e64 s[4:5], 0, v11
	s_and_saveexec_b64 s[8:9], s[4:5]
; %bb.51:
	v_bcnt_u32_b32 v10, v10, 0
	v_lshlrev_b32_e32 v11, 2, v12
	v_bcnt_u32_b32 v9, v9, v10
	ds_add_u32 v11, v9
; %bb.52:
	s_or_b64 exec, exec, s[8:9]
	v_and_b32_e32 v10, 1, v5
	v_add_co_u32_e64 v11, s[4:5], -1, v10
	v_addc_co_u32_e64 v12, s[4:5], 0, -1, s[4:5]
	v_cmp_ne_u32_e64 s[4:5], 0, v10
	v_xor_b32_e32 v10, s5, v12
	v_mov_b32_e32 v9, 0
	v_and_b32_e32 v12, exec_hi, v10
	v_lshlrev_b32_e32 v10, 30, v5
	v_xor_b32_e32 v11, s4, v11
	v_cmp_gt_i64_e64 s[4:5], 0, v[9:10]
	v_not_b32_e32 v10, v10
	v_ashrrev_i32_e32 v10, 31, v10
	v_and_b32_e32 v11, exec_lo, v11
	v_xor_b32_e32 v13, s5, v10
	v_xor_b32_e32 v10, s4, v10
	v_and_b32_e32 v11, v11, v10
	v_lshlrev_b32_e32 v10, 29, v5
	v_cmp_gt_i64_e64 s[4:5], 0, v[9:10]
	v_not_b32_e32 v10, v10
	v_ashrrev_i32_e32 v10, 31, v10
	v_and_b32_e32 v12, v12, v13
	v_xor_b32_e32 v13, s5, v10
	v_xor_b32_e32 v10, s4, v10
	v_and_b32_e32 v11, v11, v10
	v_lshlrev_b32_e32 v10, 28, v5
	v_cmp_gt_i64_e64 s[4:5], 0, v[9:10]
	v_not_b32_e32 v10, v10
	v_ashrrev_i32_e32 v10, 31, v10
	v_and_b32_e32 v12, v12, v13
	v_xor_b32_e32 v13, s5, v10
	v_xor_b32_e32 v10, s4, v10
	v_and_b32_e32 v11, v11, v10
	v_lshlrev_b32_e32 v10, 27, v5
	v_cmp_gt_i64_e64 s[4:5], 0, v[9:10]
	v_not_b32_e32 v10, v10
	v_ashrrev_i32_e32 v10, 31, v10
	v_xor_b32_e32 v14, s4, v10
	v_and_b32_e32 v12, v12, v13
	v_xor_b32_e32 v13, s5, v10
	v_and_b32_e32 v11, v11, v14
	v_and_b32_e32 v10, v12, v13
	v_mbcnt_lo_u32_b32 v12, v11, 0
	v_mbcnt_hi_u32_b32 v12, v10, v12
	v_cmp_eq_u32_e64 s[4:5], 0, v12
	s_and_saveexec_b64 s[8:9], s[4:5]
; %bb.53:
	v_bcnt_u32_b32 v11, v11, 0
	v_lshlrev_b32_e32 v5, 2, v5
	v_bcnt_u32_b32 v10, v10, v11
	ds_add_u32 v5, v10
; %bb.54:
	s_or_b64 exec, exec, s[8:9]
	v_and_b32_e32 v5, 1, v6
	v_add_co_u32_e64 v10, s[4:5], -1, v5
	v_addc_co_u32_e64 v11, s[4:5], 0, -1, s[4:5]
	v_cmp_ne_u32_e64 s[4:5], 0, v5
	v_xor_b32_e32 v10, s4, v10
	v_xor_b32_e32 v5, s5, v11
	v_and_b32_e32 v11, exec_lo, v10
	v_lshlrev_b32_e32 v10, 30, v6
	v_cmp_gt_i64_e64 s[4:5], 0, v[9:10]
	v_not_b32_e32 v10, v10
	v_ashrrev_i32_e32 v10, 31, v10
	v_xor_b32_e32 v12, s5, v10
	v_xor_b32_e32 v10, s4, v10
	v_and_b32_e32 v11, v11, v10
	v_lshlrev_b32_e32 v10, 29, v6
	v_cmp_gt_i64_e64 s[4:5], 0, v[9:10]
	v_not_b32_e32 v10, v10
	v_and_b32_e32 v5, exec_hi, v5
	v_ashrrev_i32_e32 v10, 31, v10
	v_and_b32_e32 v5, v5, v12
	v_xor_b32_e32 v12, s5, v10
	v_xor_b32_e32 v10, s4, v10
	v_and_b32_e32 v11, v11, v10
	v_lshlrev_b32_e32 v10, 28, v6
	v_cmp_gt_i64_e64 s[4:5], 0, v[9:10]
	v_not_b32_e32 v10, v10
	v_ashrrev_i32_e32 v10, 31, v10
	v_and_b32_e32 v5, v5, v12
	v_xor_b32_e32 v12, s5, v10
	v_xor_b32_e32 v10, s4, v10
	v_and_b32_e32 v11, v11, v10
	v_lshlrev_b32_e32 v10, 27, v6
	v_cmp_gt_i64_e64 s[4:5], 0, v[9:10]
	v_not_b32_e32 v9, v10
	v_ashrrev_i32_e32 v9, 31, v9
	v_xor_b32_e32 v10, s5, v9
	v_xor_b32_e32 v9, s4, v9
	v_and_b32_e32 v5, v5, v12
	v_and_b32_e32 v9, v11, v9
	;; [unrolled: 1-line block ×3, first 2 shown]
	v_mbcnt_lo_u32_b32 v10, v9, 0
	v_mbcnt_hi_u32_b32 v10, v5, v10
	v_cmp_eq_u32_e64 s[4:5], 0, v10
	s_and_saveexec_b64 s[8:9], s[4:5]
; %bb.55:
	v_bcnt_u32_b32 v9, v9, 0
	v_lshlrev_b32_e32 v6, 2, v6
	v_bcnt_u32_b32 v5, v5, v9
	ds_add_u32 v6, v5
; %bb.56:
	s_or_b64 exec, exec, s[8:9]
	v_and_b32_e32 v6, 1, v7
	v_add_co_u32_e64 v9, s[4:5], -1, v6
	v_addc_co_u32_e64 v10, s[4:5], 0, -1, s[4:5]
	v_cmp_ne_u32_e64 s[4:5], 0, v6
	v_xor_b32_e32 v6, s5, v10
	v_mov_b32_e32 v5, 0
	v_and_b32_e32 v10, exec_hi, v6
	v_lshlrev_b32_e32 v6, 30, v7
	v_xor_b32_e32 v9, s4, v9
	v_cmp_gt_i64_e64 s[4:5], 0, v[5:6]
	v_not_b32_e32 v6, v6
	v_ashrrev_i32_e32 v6, 31, v6
	v_and_b32_e32 v9, exec_lo, v9
	v_xor_b32_e32 v11, s5, v6
	v_xor_b32_e32 v6, s4, v6
	v_and_b32_e32 v9, v9, v6
	v_lshlrev_b32_e32 v6, 29, v7
	v_cmp_gt_i64_e64 s[4:5], 0, v[5:6]
	v_not_b32_e32 v6, v6
	v_ashrrev_i32_e32 v6, 31, v6
	v_and_b32_e32 v10, v10, v11
	v_xor_b32_e32 v11, s5, v6
	v_xor_b32_e32 v6, s4, v6
	v_and_b32_e32 v9, v9, v6
	v_lshlrev_b32_e32 v6, 28, v7
	v_cmp_gt_i64_e64 s[4:5], 0, v[5:6]
	v_not_b32_e32 v6, v6
	v_ashrrev_i32_e32 v6, 31, v6
	v_and_b32_e32 v10, v10, v11
	v_xor_b32_e32 v11, s5, v6
	v_xor_b32_e32 v6, s4, v6
	v_and_b32_e32 v9, v9, v6
	v_lshlrev_b32_e32 v6, 27, v7
	v_cmp_gt_i64_e64 s[4:5], 0, v[5:6]
	v_not_b32_e32 v6, v6
	v_ashrrev_i32_e32 v6, 31, v6
	v_xor_b32_e32 v12, s4, v6
	v_and_b32_e32 v10, v10, v11
	v_xor_b32_e32 v11, s5, v6
	v_and_b32_e32 v9, v9, v12
	v_and_b32_e32 v6, v10, v11
	v_mbcnt_lo_u32_b32 v10, v9, 0
	v_mbcnt_hi_u32_b32 v10, v6, v10
	v_cmp_eq_u32_e64 s[4:5], 0, v10
	s_and_saveexec_b64 s[8:9], s[4:5]
; %bb.57:
	v_bcnt_u32_b32 v9, v9, 0
	v_lshlrev_b32_e32 v7, 2, v7
	v_bcnt_u32_b32 v6, v6, v9
	ds_add_u32 v7, v6
; %bb.58:
	s_or_b64 exec, exec, s[8:9]
	v_and_b32_e32 v6, 1, v8
	v_add_co_u32_e64 v7, s[4:5], -1, v6
	v_addc_co_u32_e64 v9, s[4:5], 0, -1, s[4:5]
	v_cmp_ne_u32_e64 s[4:5], 0, v6
	v_xor_b32_e32 v6, s5, v9
	v_and_b32_e32 v9, exec_hi, v6
	v_lshlrev_b32_e32 v6, 30, v8
	v_xor_b32_e32 v7, s4, v7
	v_cmp_gt_i64_e64 s[4:5], 0, v[5:6]
	v_not_b32_e32 v6, v6
	v_ashrrev_i32_e32 v6, 31, v6
	v_and_b32_e32 v7, exec_lo, v7
	v_xor_b32_e32 v10, s5, v6
	v_xor_b32_e32 v6, s4, v6
	v_and_b32_e32 v7, v7, v6
	v_lshlrev_b32_e32 v6, 29, v8
	v_cmp_gt_i64_e64 s[4:5], 0, v[5:6]
	v_not_b32_e32 v6, v6
	v_ashrrev_i32_e32 v6, 31, v6
	v_and_b32_e32 v9, v9, v10
	v_xor_b32_e32 v10, s5, v6
	v_xor_b32_e32 v6, s4, v6
	v_and_b32_e32 v7, v7, v6
	v_lshlrev_b32_e32 v6, 28, v8
	v_cmp_gt_i64_e64 s[4:5], 0, v[5:6]
	v_not_b32_e32 v6, v6
	v_ashrrev_i32_e32 v6, 31, v6
	v_and_b32_e32 v9, v9, v10
	;; [unrolled: 8-line block ×3, first 2 shown]
	v_xor_b32_e32 v6, s5, v5
	v_xor_b32_e32 v10, s4, v5
	v_and_b32_e32 v5, v9, v6
	v_and_b32_e32 v6, v7, v10
	v_mbcnt_lo_u32_b32 v7, v6, 0
	v_mbcnt_hi_u32_b32 v7, v5, v7
	v_cmp_eq_u32_e64 s[4:5], 0, v7
	s_and_saveexec_b64 s[8:9], s[4:5]
; %bb.59:
	v_bcnt_u32_b32 v6, v6, 0
	v_lshlrev_b32_e32 v7, 2, v8
	v_bcnt_u32_b32 v5, v5, v6
	ds_add_u32 v7, v5
; %bb.60:
	s_or_b64 exec, exec, s[8:9]
	v_and_b32_e32 v6, 1, v1
	v_add_co_u32_e64 v7, s[4:5], -1, v6
	v_addc_co_u32_e64 v8, s[4:5], 0, -1, s[4:5]
	v_cmp_ne_u32_e64 s[4:5], 0, v6
	v_xor_b32_e32 v6, s5, v8
	v_mov_b32_e32 v5, 0
	v_and_b32_e32 v8, exec_hi, v6
	v_lshlrev_b32_e32 v6, 30, v1
	v_xor_b32_e32 v7, s4, v7
	v_cmp_gt_i64_e64 s[4:5], 0, v[5:6]
	v_not_b32_e32 v6, v6
	v_ashrrev_i32_e32 v6, 31, v6
	v_and_b32_e32 v7, exec_lo, v7
	v_xor_b32_e32 v9, s5, v6
	v_xor_b32_e32 v6, s4, v6
	v_and_b32_e32 v7, v7, v6
	v_lshlrev_b32_e32 v6, 29, v1
	v_cmp_gt_i64_e64 s[4:5], 0, v[5:6]
	v_not_b32_e32 v6, v6
	v_ashrrev_i32_e32 v6, 31, v6
	v_and_b32_e32 v8, v8, v9
	v_xor_b32_e32 v9, s5, v6
	v_xor_b32_e32 v6, s4, v6
	v_and_b32_e32 v7, v7, v6
	v_lshlrev_b32_e32 v6, 28, v1
	v_cmp_gt_i64_e64 s[4:5], 0, v[5:6]
	v_not_b32_e32 v6, v6
	v_ashrrev_i32_e32 v6, 31, v6
	v_and_b32_e32 v8, v8, v9
	v_xor_b32_e32 v9, s5, v6
	v_xor_b32_e32 v6, s4, v6
	v_and_b32_e32 v7, v7, v6
	v_lshlrev_b32_e32 v6, 27, v1
	v_cmp_gt_i64_e64 s[4:5], 0, v[5:6]
	v_not_b32_e32 v6, v6
	v_ashrrev_i32_e32 v6, 31, v6
	v_xor_b32_e32 v10, s4, v6
	v_and_b32_e32 v8, v8, v9
	v_xor_b32_e32 v9, s5, v6
	v_and_b32_e32 v7, v7, v10
	v_and_b32_e32 v6, v8, v9
	v_mbcnt_lo_u32_b32 v8, v7, 0
	v_mbcnt_hi_u32_b32 v8, v6, v8
	v_cmp_eq_u32_e64 s[4:5], 0, v8
	s_and_saveexec_b64 s[8:9], s[4:5]
; %bb.61:
	v_bcnt_u32_b32 v7, v7, 0
	v_lshlrev_b32_e32 v1, 2, v1
	v_bcnt_u32_b32 v6, v6, v7
	ds_add_u32 v1, v6
; %bb.62:
	s_or_b64 exec, exec, s[8:9]
	v_and_b32_e32 v1, 1, v2
	v_add_co_u32_e64 v6, s[4:5], -1, v1
	v_addc_co_u32_e64 v7, s[4:5], 0, -1, s[4:5]
	v_cmp_ne_u32_e64 s[4:5], 0, v1
	v_xor_b32_e32 v6, s4, v6
	v_xor_b32_e32 v1, s5, v7
	v_and_b32_e32 v7, exec_lo, v6
	v_lshlrev_b32_e32 v6, 30, v2
	v_cmp_gt_i64_e64 s[4:5], 0, v[5:6]
	v_not_b32_e32 v6, v6
	v_ashrrev_i32_e32 v6, 31, v6
	v_xor_b32_e32 v8, s5, v6
	v_xor_b32_e32 v6, s4, v6
	v_and_b32_e32 v7, v7, v6
	v_lshlrev_b32_e32 v6, 29, v2
	v_cmp_gt_i64_e64 s[4:5], 0, v[5:6]
	v_not_b32_e32 v6, v6
	v_and_b32_e32 v1, exec_hi, v1
	v_ashrrev_i32_e32 v6, 31, v6
	v_and_b32_e32 v1, v1, v8
	v_xor_b32_e32 v8, s5, v6
	v_xor_b32_e32 v6, s4, v6
	v_and_b32_e32 v7, v7, v6
	v_lshlrev_b32_e32 v6, 28, v2
	v_cmp_gt_i64_e64 s[4:5], 0, v[5:6]
	v_not_b32_e32 v6, v6
	v_ashrrev_i32_e32 v6, 31, v6
	v_and_b32_e32 v1, v1, v8
	v_xor_b32_e32 v8, s5, v6
	v_xor_b32_e32 v6, s4, v6
	v_and_b32_e32 v7, v7, v6
	v_lshlrev_b32_e32 v6, 27, v2
	v_cmp_gt_i64_e64 s[4:5], 0, v[5:6]
	v_not_b32_e32 v5, v6
	v_ashrrev_i32_e32 v5, 31, v5
	v_xor_b32_e32 v6, s5, v5
	v_xor_b32_e32 v5, s4, v5
	v_and_b32_e32 v1, v1, v8
	v_and_b32_e32 v5, v7, v5
	;; [unrolled: 1-line block ×3, first 2 shown]
	v_mbcnt_lo_u32_b32 v6, v5, 0
	v_mbcnt_hi_u32_b32 v6, v1, v6
	v_cmp_eq_u32_e64 s[4:5], 0, v6
	s_and_saveexec_b64 s[8:9], s[4:5]
; %bb.63:
	v_bcnt_u32_b32 v5, v5, 0
	v_lshlrev_b32_e32 v2, 2, v2
	v_bcnt_u32_b32 v1, v1, v5
	ds_add_u32 v2, v1
; %bb.64:
	s_or_b64 exec, exec, s[8:9]
	v_and_b32_e32 v2, 1, v3
	v_add_co_u32_e64 v5, s[4:5], -1, v2
	v_addc_co_u32_e64 v6, s[4:5], 0, -1, s[4:5]
	v_cmp_ne_u32_e64 s[4:5], 0, v2
	v_xor_b32_e32 v2, s5, v6
	v_mov_b32_e32 v1, 0
	v_and_b32_e32 v6, exec_hi, v2
	v_lshlrev_b32_e32 v2, 30, v3
	v_xor_b32_e32 v5, s4, v5
	v_cmp_gt_i64_e64 s[4:5], 0, v[1:2]
	v_not_b32_e32 v2, v2
	v_ashrrev_i32_e32 v2, 31, v2
	v_and_b32_e32 v5, exec_lo, v5
	v_xor_b32_e32 v7, s5, v2
	v_xor_b32_e32 v2, s4, v2
	v_and_b32_e32 v5, v5, v2
	v_lshlrev_b32_e32 v2, 29, v3
	v_cmp_gt_i64_e64 s[4:5], 0, v[1:2]
	v_not_b32_e32 v2, v2
	v_ashrrev_i32_e32 v2, 31, v2
	v_and_b32_e32 v6, v6, v7
	v_xor_b32_e32 v7, s5, v2
	v_xor_b32_e32 v2, s4, v2
	v_and_b32_e32 v5, v5, v2
	v_lshlrev_b32_e32 v2, 28, v3
	v_cmp_gt_i64_e64 s[4:5], 0, v[1:2]
	v_not_b32_e32 v2, v2
	v_ashrrev_i32_e32 v2, 31, v2
	v_and_b32_e32 v6, v6, v7
	v_xor_b32_e32 v7, s5, v2
	v_xor_b32_e32 v2, s4, v2
	v_and_b32_e32 v5, v5, v2
	v_lshlrev_b32_e32 v2, 27, v3
	v_cmp_gt_i64_e64 s[4:5], 0, v[1:2]
	v_not_b32_e32 v2, v2
	v_ashrrev_i32_e32 v2, 31, v2
	v_xor_b32_e32 v8, s4, v2
	v_and_b32_e32 v6, v6, v7
	v_xor_b32_e32 v7, s5, v2
	v_and_b32_e32 v5, v5, v8
	v_and_b32_e32 v2, v6, v7
	v_mbcnt_lo_u32_b32 v6, v5, 0
	v_mbcnt_hi_u32_b32 v6, v2, v6
	v_cmp_eq_u32_e64 s[4:5], 0, v6
	s_and_saveexec_b64 s[8:9], s[4:5]
; %bb.65:
	v_bcnt_u32_b32 v5, v5, 0
	v_lshlrev_b32_e32 v3, 2, v3
	v_bcnt_u32_b32 v2, v2, v5
	ds_add_u32 v3, v2
; %bb.66:
	s_or_b64 exec, exec, s[8:9]
	v_and_b32_e32 v2, 1, v4
	v_add_co_u32_e64 v3, s[4:5], -1, v2
	v_addc_co_u32_e64 v5, s[4:5], 0, -1, s[4:5]
	v_cmp_ne_u32_e64 s[4:5], 0, v2
	v_xor_b32_e32 v2, s5, v5
	v_and_b32_e32 v5, exec_hi, v2
	v_lshlrev_b32_e32 v2, 30, v4
	v_xor_b32_e32 v3, s4, v3
	v_cmp_gt_i64_e64 s[4:5], 0, v[1:2]
	v_not_b32_e32 v2, v2
	v_ashrrev_i32_e32 v2, 31, v2
	v_and_b32_e32 v3, exec_lo, v3
	v_xor_b32_e32 v6, s5, v2
	v_xor_b32_e32 v2, s4, v2
	v_and_b32_e32 v3, v3, v2
	v_lshlrev_b32_e32 v2, 29, v4
	v_cmp_gt_i64_e64 s[4:5], 0, v[1:2]
	v_not_b32_e32 v2, v2
	v_ashrrev_i32_e32 v2, 31, v2
	v_and_b32_e32 v5, v5, v6
	v_xor_b32_e32 v6, s5, v2
	v_xor_b32_e32 v2, s4, v2
	v_and_b32_e32 v3, v3, v2
	v_lshlrev_b32_e32 v2, 28, v4
	v_cmp_gt_i64_e64 s[4:5], 0, v[1:2]
	v_not_b32_e32 v2, v2
	v_ashrrev_i32_e32 v2, 31, v2
	v_and_b32_e32 v5, v5, v6
	;; [unrolled: 8-line block ×3, first 2 shown]
	v_xor_b32_e32 v2, s5, v1
	v_xor_b32_e32 v6, s4, v1
	v_and_b32_e32 v1, v5, v2
	v_and_b32_e32 v2, v3, v6
	v_mbcnt_lo_u32_b32 v3, v2, 0
	v_mbcnt_hi_u32_b32 v3, v1, v3
	v_cmp_eq_u32_e64 s[4:5], 0, v3
	s_and_saveexec_b64 s[8:9], s[4:5]
; %bb.67:
	v_bcnt_u32_b32 v2, v2, 0
	v_lshlrev_b32_e32 v3, 2, v4
	v_bcnt_u32_b32 v1, v1, v2
	ds_add_u32 v3, v1
; %bb.68:
	s_or_b64 exec, exec, s[8:9]
	s_mul_i32 s6, s6, 18
	v_mov_b32_e32 v1, s6
	s_waitcnt lgkmcnt(0)
	; wave barrier
	; wave barrier
	s_and_saveexec_b64 s[4:5], s[2:3]
	s_cbranch_execnz .LBB27_74
; %bb.69:
	s_or_b64 exec, exec, s[4:5]
	s_and_saveexec_b64 s[2:3], s[0:1]
	s_cbranch_execnz .LBB27_75
.LBB27_70:
	s_or_b64 exec, exec, s[2:3]
	s_and_saveexec_b64 s[0:1], vcc
	s_cbranch_execnz .LBB27_76
.LBB27_71:
	s_endpgm
.LBB27_72:
	ds_write_b32 v35, v33
	s_or_b64 exec, exec, s[0:1]
	v_cmp_gt_u32_e64 s[0:1], 12, v0
	s_and_saveexec_b64 s[4:5], s[0:1]
	s_cbranch_execz .LBB27_2
.LBB27_73:
	v_mov_b32_e32 v33, 0
	ds_write_b32 v35, v33 offset:24
	s_or_b64 exec, exec, s[4:5]
	v_cmp_gt_u32_e32 vcc, 6, v0
	s_and_saveexec_b64 s[4:5], vcc
	s_cbranch_execnz .LBB27_3
	s_branch .LBB27_4
.LBB27_74:
	v_add_u32_e32 v1, s6, v0
	v_mov_b32_e32 v2, 0
	ds_read_b32 v4, v35
	v_lshlrev_b64 v[1:2], 2, v[1:2]
	v_mov_b32_e32 v3, s11
	v_add_co_u32_e64 v1, s[2:3], s10, v1
	s_add_i32 s7, s6, 6
	v_addc_co_u32_e64 v2, s[2:3], v3, v2, s[2:3]
	s_waitcnt lgkmcnt(0)
	global_store_dword v[1:2], v4, off
	v_mov_b32_e32 v1, s7
	s_or_b64 exec, exec, s[4:5]
	s_and_saveexec_b64 s[2:3], s[0:1]
	s_cbranch_execz .LBB27_70
.LBB27_75:
	v_add_u32_e32 v3, 6, v1
	v_add_u32_e32 v1, v1, v0
	v_mov_b32_e32 v2, 0
	ds_read_b32 v5, v35 offset:24
	v_lshlrev_b64 v[1:2], 2, v[1:2]
	v_mov_b32_e32 v4, s11
	v_add_co_u32_e64 v1, s[0:1], s10, v1
	v_addc_co_u32_e64 v2, s[0:1], v4, v2, s[0:1]
	s_waitcnt lgkmcnt(0)
	global_store_dword v[1:2], v5, off
	v_mov_b32_e32 v1, v3
	s_or_b64 exec, exec, s[2:3]
	s_and_saveexec_b64 s[0:1], vcc
	s_cbranch_execz .LBB27_71
.LBB27_76:
	v_add_u32_e32 v0, v1, v0
	v_mov_b32_e32 v1, 0
	ds_read_b32 v3, v35 offset:48
	v_lshlrev_b64 v[0:1], 2, v[0:1]
	v_mov_b32_e32 v2, s11
	v_add_co_u32_e32 v0, vcc, s10, v0
	v_addc_co_u32_e32 v1, vcc, v2, v1, vcc
	s_waitcnt lgkmcnt(0)
	global_store_dword v[0:1], v3, off
	s_endpgm
	.section	.rodata,"a",@progbits
	.p2align	6, 0x0
	.amdhsa_kernel _Z16histogram_kernelILj6ELj32ELj18ELN6hipcub23BlockHistogramAlgorithmE0EjEvPT3_S3_
		.amdhsa_group_segment_fixed_size 72
		.amdhsa_private_segment_fixed_size 0
		.amdhsa_kernarg_size 16
		.amdhsa_user_sgpr_count 6
		.amdhsa_user_sgpr_private_segment_buffer 1
		.amdhsa_user_sgpr_dispatch_ptr 0
		.amdhsa_user_sgpr_queue_ptr 0
		.amdhsa_user_sgpr_kernarg_segment_ptr 1
		.amdhsa_user_sgpr_dispatch_id 0
		.amdhsa_user_sgpr_flat_scratch_init 0
		.amdhsa_user_sgpr_private_segment_size 0
		.amdhsa_uses_dynamic_stack 0
		.amdhsa_system_sgpr_private_segment_wavefront_offset 0
		.amdhsa_system_sgpr_workgroup_id_x 1
		.amdhsa_system_sgpr_workgroup_id_y 0
		.amdhsa_system_sgpr_workgroup_id_z 0
		.amdhsa_system_sgpr_workgroup_info 0
		.amdhsa_system_vgpr_workitem_id 0
		.amdhsa_next_free_vgpr 40
		.amdhsa_next_free_sgpr 12
		.amdhsa_reserve_vcc 1
		.amdhsa_reserve_flat_scratch 0
		.amdhsa_float_round_mode_32 0
		.amdhsa_float_round_mode_16_64 0
		.amdhsa_float_denorm_mode_32 3
		.amdhsa_float_denorm_mode_16_64 3
		.amdhsa_dx10_clamp 1
		.amdhsa_ieee_mode 1
		.amdhsa_fp16_overflow 0
		.amdhsa_exception_fp_ieee_invalid_op 0
		.amdhsa_exception_fp_denorm_src 0
		.amdhsa_exception_fp_ieee_div_zero 0
		.amdhsa_exception_fp_ieee_overflow 0
		.amdhsa_exception_fp_ieee_underflow 0
		.amdhsa_exception_fp_ieee_inexact 0
		.amdhsa_exception_int_div_zero 0
	.end_amdhsa_kernel
	.section	.text._Z16histogram_kernelILj6ELj32ELj18ELN6hipcub23BlockHistogramAlgorithmE0EjEvPT3_S3_,"axG",@progbits,_Z16histogram_kernelILj6ELj32ELj18ELN6hipcub23BlockHistogramAlgorithmE0EjEvPT3_S3_,comdat
.Lfunc_end27:
	.size	_Z16histogram_kernelILj6ELj32ELj18ELN6hipcub23BlockHistogramAlgorithmE0EjEvPT3_S3_, .Lfunc_end27-_Z16histogram_kernelILj6ELj32ELj18ELN6hipcub23BlockHistogramAlgorithmE0EjEvPT3_S3_
                                        ; -- End function
	.set _Z16histogram_kernelILj6ELj32ELj18ELN6hipcub23BlockHistogramAlgorithmE0EjEvPT3_S3_.num_vgpr, 40
	.set _Z16histogram_kernelILj6ELj32ELj18ELN6hipcub23BlockHistogramAlgorithmE0EjEvPT3_S3_.num_agpr, 0
	.set _Z16histogram_kernelILj6ELj32ELj18ELN6hipcub23BlockHistogramAlgorithmE0EjEvPT3_S3_.numbered_sgpr, 12
	.set _Z16histogram_kernelILj6ELj32ELj18ELN6hipcub23BlockHistogramAlgorithmE0EjEvPT3_S3_.num_named_barrier, 0
	.set _Z16histogram_kernelILj6ELj32ELj18ELN6hipcub23BlockHistogramAlgorithmE0EjEvPT3_S3_.private_seg_size, 0
	.set _Z16histogram_kernelILj6ELj32ELj18ELN6hipcub23BlockHistogramAlgorithmE0EjEvPT3_S3_.uses_vcc, 1
	.set _Z16histogram_kernelILj6ELj32ELj18ELN6hipcub23BlockHistogramAlgorithmE0EjEvPT3_S3_.uses_flat_scratch, 0
	.set _Z16histogram_kernelILj6ELj32ELj18ELN6hipcub23BlockHistogramAlgorithmE0EjEvPT3_S3_.has_dyn_sized_stack, 0
	.set _Z16histogram_kernelILj6ELj32ELj18ELN6hipcub23BlockHistogramAlgorithmE0EjEvPT3_S3_.has_recursion, 0
	.set _Z16histogram_kernelILj6ELj32ELj18ELN6hipcub23BlockHistogramAlgorithmE0EjEvPT3_S3_.has_indirect_call, 0
	.section	.AMDGPU.csdata,"",@progbits
; Kernel info:
; codeLenInByte = 8504
; TotalNumSgprs: 16
; NumVgprs: 40
; ScratchSize: 0
; MemoryBound: 0
; FloatMode: 240
; IeeeMode: 1
; LDSByteSize: 72 bytes/workgroup (compile time only)
; SGPRBlocks: 1
; VGPRBlocks: 9
; NumSGPRsForWavesPerEU: 16
; NumVGPRsForWavesPerEU: 40
; Occupancy: 6
; WaveLimiterHint : 0
; COMPUTE_PGM_RSRC2:SCRATCH_EN: 0
; COMPUTE_PGM_RSRC2:USER_SGPR: 6
; COMPUTE_PGM_RSRC2:TRAP_HANDLER: 0
; COMPUTE_PGM_RSRC2:TGID_X_EN: 1
; COMPUTE_PGM_RSRC2:TGID_Y_EN: 0
; COMPUTE_PGM_RSRC2:TGID_Z_EN: 0
; COMPUTE_PGM_RSRC2:TIDIG_COMP_CNT: 0
	.section	.AMDGPU.gpr_maximums,"",@progbits
	.set amdgpu.max_num_vgpr, 0
	.set amdgpu.max_num_agpr, 0
	.set amdgpu.max_num_sgpr, 0
	.section	.AMDGPU.csdata,"",@progbits
	.type	__hip_cuid_203ba27bd54fb2c3,@object ; @__hip_cuid_203ba27bd54fb2c3
	.section	.bss,"aw",@nobits
	.globl	__hip_cuid_203ba27bd54fb2c3
__hip_cuid_203ba27bd54fb2c3:
	.byte	0                               ; 0x0
	.size	__hip_cuid_203ba27bd54fb2c3, 1

	.ident	"AMD clang version 22.0.0git (https://github.com/RadeonOpenCompute/llvm-project roc-7.2.4 26084 f58b06dce1f9c15707c5f808fd002e18c2accf7e)"
	.section	".note.GNU-stack","",@progbits
	.addrsig
	.addrsig_sym __hip_cuid_203ba27bd54fb2c3
	.amdgpu_metadata
---
amdhsa.kernels:
  - .args:
      - .address_space:  global
        .offset:         0
        .size:           8
        .value_kind:     global_buffer
      - .address_space:  global
        .offset:         8
        .size:           8
        .value_kind:     global_buffer
      - .offset:         16
        .size:           4
        .value_kind:     hidden_block_count_x
      - .offset:         20
        .size:           4
        .value_kind:     hidden_block_count_y
      - .offset:         24
        .size:           4
        .value_kind:     hidden_block_count_z
      - .offset:         28
        .size:           2
        .value_kind:     hidden_group_size_x
      - .offset:         30
        .size:           2
        .value_kind:     hidden_group_size_y
      - .offset:         32
        .size:           2
        .value_kind:     hidden_group_size_z
      - .offset:         34
        .size:           2
        .value_kind:     hidden_remainder_x
      - .offset:         36
        .size:           2
        .value_kind:     hidden_remainder_y
      - .offset:         38
        .size:           2
        .value_kind:     hidden_remainder_z
      - .offset:         56
        .size:           8
        .value_kind:     hidden_global_offset_x
      - .offset:         64
        .size:           8
        .value_kind:     hidden_global_offset_y
      - .offset:         72
        .size:           8
        .value_kind:     hidden_global_offset_z
      - .offset:         80
        .size:           2
        .value_kind:     hidden_grid_dims
    .group_segment_fixed_size: 18496
    .kernarg_segment_align: 8
    .kernarg_segment_size: 272
    .language:       OpenCL C
    .language_version:
      - 2
      - 0
    .max_flat_workgroup_size: 1024
    .name:           _Z16histogram_kernelILj1024ELj1ELj1024ELN6hipcub23BlockHistogramAlgorithmE1EtEvPT3_S3_
    .private_segment_fixed_size: 0
    .sgpr_count:     32
    .sgpr_spill_count: 0
    .symbol:         _Z16histogram_kernelILj1024ELj1ELj1024ELN6hipcub23BlockHistogramAlgorithmE1EtEvPT3_S3_.kd
    .uniform_work_group_size: 1
    .uses_dynamic_stack: false
    .vgpr_count:     24
    .vgpr_spill_count: 0
    .wavefront_size: 64
  - .args:
      - .address_space:  global
        .offset:         0
        .size:           8
        .value_kind:     global_buffer
      - .address_space:  global
        .offset:         8
        .size:           8
        .value_kind:     global_buffer
      - .offset:         16
        .size:           4
        .value_kind:     hidden_block_count_x
      - .offset:         20
        .size:           4
        .value_kind:     hidden_block_count_y
      - .offset:         24
        .size:           4
        .value_kind:     hidden_block_count_z
      - .offset:         28
        .size:           2
        .value_kind:     hidden_group_size_x
      - .offset:         30
        .size:           2
        .value_kind:     hidden_group_size_y
      - .offset:         32
        .size:           2
        .value_kind:     hidden_group_size_z
      - .offset:         34
        .size:           2
        .value_kind:     hidden_remainder_x
      - .offset:         36
        .size:           2
        .value_kind:     hidden_remainder_y
      - .offset:         38
        .size:           2
        .value_kind:     hidden_remainder_z
      - .offset:         56
        .size:           8
        .value_kind:     hidden_global_offset_x
      - .offset:         64
        .size:           8
        .value_kind:     hidden_global_offset_y
      - .offset:         72
        .size:           8
        .value_kind:     hidden_global_offset_z
      - .offset:         80
        .size:           2
        .value_kind:     hidden_grid_dims
    .group_segment_fixed_size: 9248
    .kernarg_segment_align: 8
    .kernarg_segment_size: 272
    .language:       OpenCL C
    .language_version:
      - 2
      - 0
    .max_flat_workgroup_size: 512
    .name:           _Z16histogram_kernelILj512ELj4ELj512ELN6hipcub23BlockHistogramAlgorithmE1EtEvPT3_S3_
    .private_segment_fixed_size: 0
    .sgpr_count:     44
    .sgpr_spill_count: 0
    .symbol:         _Z16histogram_kernelILj512ELj4ELj512ELN6hipcub23BlockHistogramAlgorithmE1EtEvPT3_S3_.kd
    .uniform_work_group_size: 1
    .uses_dynamic_stack: false
    .vgpr_count:     33
    .vgpr_spill_count: 0
    .wavefront_size: 64
  - .args:
      - .address_space:  global
        .offset:         0
        .size:           8
        .value_kind:     global_buffer
      - .address_space:  global
        .offset:         8
        .size:           8
        .value_kind:     global_buffer
      - .offset:         16
        .size:           4
        .value_kind:     hidden_block_count_x
      - .offset:         20
        .size:           4
        .value_kind:     hidden_block_count_y
      - .offset:         24
        .size:           4
        .value_kind:     hidden_block_count_z
      - .offset:         28
        .size:           2
        .value_kind:     hidden_group_size_x
      - .offset:         30
        .size:           2
        .value_kind:     hidden_group_size_y
      - .offset:         32
        .size:           2
        .value_kind:     hidden_group_size_z
      - .offset:         34
        .size:           2
        .value_kind:     hidden_remainder_x
      - .offset:         36
        .size:           2
        .value_kind:     hidden_remainder_y
      - .offset:         38
        .size:           2
        .value_kind:     hidden_remainder_z
      - .offset:         56
        .size:           8
        .value_kind:     hidden_global_offset_x
      - .offset:         64
        .size:           8
        .value_kind:     hidden_global_offset_y
      - .offset:         72
        .size:           8
        .value_kind:     hidden_global_offset_z
      - .offset:         80
        .size:           2
        .value_kind:     hidden_grid_dims
    .group_segment_fixed_size: 6144
    .kernarg_segment_align: 8
    .kernarg_segment_size: 272
    .language:       OpenCL C
    .language_version:
      - 2
      - 0
    .max_flat_workgroup_size: 256
    .name:           _Z16histogram_kernelILj256ELj3ELj512ELN6hipcub23BlockHistogramAlgorithmE1EtEvPT3_S3_
    .private_segment_fixed_size: 0
    .sgpr_count:     44
    .sgpr_spill_count: 0
    .symbol:         _Z16histogram_kernelILj256ELj3ELj512ELN6hipcub23BlockHistogramAlgorithmE1EtEvPT3_S3_.kd
    .uniform_work_group_size: 1
    .uses_dynamic_stack: false
    .vgpr_count:     28
    .vgpr_spill_count: 0
    .wavefront_size: 64
  - .args:
      - .address_space:  global
        .offset:         0
        .size:           8
        .value_kind:     global_buffer
      - .address_space:  global
        .offset:         8
        .size:           8
        .value_kind:     global_buffer
    .group_segment_fixed_size: 1168
    .kernarg_segment_align: 8
    .kernarg_segment_size: 16
    .language:       OpenCL C
    .language_version:
      - 2
      - 0
    .max_flat_workgroup_size: 32
    .name:           _Z16histogram_kernelILj32ELj2ELj64ELN6hipcub23BlockHistogramAlgorithmE1EtEvPT3_S3_
    .private_segment_fixed_size: 0
    .sgpr_count:     29
    .sgpr_spill_count: 0
    .symbol:         _Z16histogram_kernelILj32ELj2ELj64ELN6hipcub23BlockHistogramAlgorithmE1EtEvPT3_S3_.kd
    .uniform_work_group_size: 1
    .uses_dynamic_stack: false
    .vgpr_count:     22
    .vgpr_spill_count: 0
    .wavefront_size: 64
  - .args:
      - .address_space:  global
        .offset:         0
        .size:           8
        .value_kind:     global_buffer
      - .address_space:  global
        .offset:         8
        .size:           8
        .value_kind:     global_buffer
    .group_segment_fixed_size: 420
    .kernarg_segment_align: 8
    .kernarg_segment_size: 16
    .language:       OpenCL C
    .language_version:
      - 2
      - 0
    .max_flat_workgroup_size: 6
    .name:           _Z16histogram_kernelILj6ELj32ELj18ELN6hipcub23BlockHistogramAlgorithmE1EtEvPT3_S3_
    .private_segment_fixed_size: 0
    .sgpr_count:     36
    .sgpr_spill_count: 0
    .symbol:         _Z16histogram_kernelILj6ELj32ELj18ELN6hipcub23BlockHistogramAlgorithmE1EtEvPT3_S3_.kd
    .uniform_work_group_size: 1
    .uses_dynamic_stack: false
    .vgpr_count:     128
    .vgpr_spill_count: 0
    .wavefront_size: 64
  - .args:
      - .address_space:  global
        .offset:         0
        .size:           8
        .value_kind:     global_buffer
      - .address_space:  global
        .offset:         8
        .size:           8
        .value_kind:     global_buffer
      - .offset:         16
        .size:           4
        .value_kind:     hidden_block_count_x
      - .offset:         20
        .size:           4
        .value_kind:     hidden_block_count_y
      - .offset:         24
        .size:           4
        .value_kind:     hidden_block_count_z
      - .offset:         28
        .size:           2
        .value_kind:     hidden_group_size_x
      - .offset:         30
        .size:           2
        .value_kind:     hidden_group_size_y
      - .offset:         32
        .size:           2
        .value_kind:     hidden_group_size_z
      - .offset:         34
        .size:           2
        .value_kind:     hidden_remainder_x
      - .offset:         36
        .size:           2
        .value_kind:     hidden_remainder_y
      - .offset:         38
        .size:           2
        .value_kind:     hidden_remainder_z
      - .offset:         56
        .size:           8
        .value_kind:     hidden_global_offset_x
      - .offset:         64
        .size:           8
        .value_kind:     hidden_global_offset_y
      - .offset:         72
        .size:           8
        .value_kind:     hidden_global_offset_z
      - .offset:         80
        .size:           2
        .value_kind:     hidden_grid_dims
    .group_segment_fixed_size: 17472
    .kernarg_segment_align: 8
    .kernarg_segment_size: 272
    .language:       OpenCL C
    .language_version:
      - 2
      - 0
    .max_flat_workgroup_size: 1024
    .name:           _Z16histogram_kernelILj1024ELj1ELj1024ELN6hipcub23BlockHistogramAlgorithmE1EhEvPT3_S3_
    .private_segment_fixed_size: 0
    .sgpr_count:     16
    .sgpr_spill_count: 0
    .symbol:         _Z16histogram_kernelILj1024ELj1ELj1024ELN6hipcub23BlockHistogramAlgorithmE1EhEvPT3_S3_.kd
    .uniform_work_group_size: 1
    .uses_dynamic_stack: false
    .vgpr_count:     15
    .vgpr_spill_count: 0
    .wavefront_size: 64
  - .args:
      - .address_space:  global
        .offset:         0
        .size:           8
        .value_kind:     global_buffer
      - .address_space:  global
        .offset:         8
        .size:           8
        .value_kind:     global_buffer
      - .offset:         16
        .size:           4
        .value_kind:     hidden_block_count_x
      - .offset:         20
        .size:           4
        .value_kind:     hidden_block_count_y
      - .offset:         24
        .size:           4
        .value_kind:     hidden_block_count_z
      - .offset:         28
        .size:           2
        .value_kind:     hidden_group_size_x
      - .offset:         30
        .size:           2
        .value_kind:     hidden_group_size_y
      - .offset:         32
        .size:           2
        .value_kind:     hidden_group_size_z
      - .offset:         34
        .size:           2
        .value_kind:     hidden_remainder_x
      - .offset:         36
        .size:           2
        .value_kind:     hidden_remainder_y
      - .offset:         38
        .size:           2
        .value_kind:     hidden_remainder_z
      - .offset:         56
        .size:           8
        .value_kind:     hidden_global_offset_x
      - .offset:         64
        .size:           8
        .value_kind:     hidden_global_offset_y
      - .offset:         72
        .size:           8
        .value_kind:     hidden_global_offset_z
      - .offset:         80
        .size:           2
        .value_kind:     hidden_grid_dims
    .group_segment_fixed_size: 8736
    .kernarg_segment_align: 8
    .kernarg_segment_size: 272
    .language:       OpenCL C
    .language_version:
      - 2
      - 0
    .max_flat_workgroup_size: 512
    .name:           _Z16histogram_kernelILj512ELj4ELj512ELN6hipcub23BlockHistogramAlgorithmE1EhEvPT3_S3_
    .private_segment_fixed_size: 0
    .sgpr_count:     21
    .sgpr_spill_count: 0
    .symbol:         _Z16histogram_kernelILj512ELj4ELj512ELN6hipcub23BlockHistogramAlgorithmE1EhEvPT3_S3_.kd
    .uniform_work_group_size: 1
    .uses_dynamic_stack: false
    .vgpr_count:     28
    .vgpr_spill_count: 0
    .wavefront_size: 64
  - .args:
      - .address_space:  global
        .offset:         0
        .size:           8
        .value_kind:     global_buffer
      - .address_space:  global
        .offset:         8
        .size:           8
        .value_kind:     global_buffer
      - .offset:         16
        .size:           4
        .value_kind:     hidden_block_count_x
      - .offset:         20
        .size:           4
        .value_kind:     hidden_block_count_y
      - .offset:         24
        .size:           4
        .value_kind:     hidden_block_count_z
      - .offset:         28
        .size:           2
        .value_kind:     hidden_group_size_x
      - .offset:         30
        .size:           2
        .value_kind:     hidden_group_size_y
      - .offset:         32
        .size:           2
        .value_kind:     hidden_group_size_z
      - .offset:         34
        .size:           2
        .value_kind:     hidden_remainder_x
      - .offset:         36
        .size:           2
        .value_kind:     hidden_remainder_y
      - .offset:         38
        .size:           2
        .value_kind:     hidden_remainder_z
      - .offset:         56
        .size:           8
        .value_kind:     hidden_global_offset_x
      - .offset:         64
        .size:           8
        .value_kind:     hidden_global_offset_y
      - .offset:         72
        .size:           8
        .value_kind:     hidden_global_offset_z
      - .offset:         80
        .size:           2
        .value_kind:     hidden_grid_dims
    .group_segment_fixed_size: 5120
    .kernarg_segment_align: 8
    .kernarg_segment_size: 272
    .language:       OpenCL C
    .language_version:
      - 2
      - 0
    .max_flat_workgroup_size: 256
    .name:           _Z16histogram_kernelILj256ELj3ELj512ELN6hipcub23BlockHistogramAlgorithmE1EhEvPT3_S3_
    .private_segment_fixed_size: 0
    .sgpr_count:     18
    .sgpr_spill_count: 0
    .symbol:         _Z16histogram_kernelILj256ELj3ELj512ELN6hipcub23BlockHistogramAlgorithmE1EhEvPT3_S3_.kd
    .uniform_work_group_size: 1
    .uses_dynamic_stack: false
    .vgpr_count:     23
    .vgpr_spill_count: 0
    .wavefront_size: 64
  - .args:
      - .address_space:  global
        .offset:         0
        .size:           8
        .value_kind:     global_buffer
      - .address_space:  global
        .offset:         8
        .size:           8
        .value_kind:     global_buffer
    .group_segment_fixed_size: 1104
    .kernarg_segment_align: 8
    .kernarg_segment_size: 16
    .language:       OpenCL C
    .language_version:
      - 2
      - 0
    .max_flat_workgroup_size: 32
    .name:           _Z16histogram_kernelILj32ELj2ELj64ELN6hipcub23BlockHistogramAlgorithmE1EhEvPT3_S3_
    .private_segment_fixed_size: 0
    .sgpr_count:     29
    .sgpr_spill_count: 0
    .symbol:         _Z16histogram_kernelILj32ELj2ELj64ELN6hipcub23BlockHistogramAlgorithmE1EhEvPT3_S3_.kd
    .uniform_work_group_size: 1
    .uses_dynamic_stack: false
    .vgpr_count:     22
    .vgpr_spill_count: 0
    .wavefront_size: 64
  - .args:
      - .address_space:  global
        .offset:         0
        .size:           8
        .value_kind:     global_buffer
      - .address_space:  global
        .offset:         8
        .size:           8
        .value_kind:     global_buffer
    .group_segment_fixed_size: 226
    .kernarg_segment_align: 8
    .kernarg_segment_size: 16
    .language:       OpenCL C
    .language_version:
      - 2
      - 0
    .max_flat_workgroup_size: 6
    .name:           _Z16histogram_kernelILj6ELj32ELj18ELN6hipcub23BlockHistogramAlgorithmE1EhEvPT3_S3_
    .private_segment_fixed_size: 0
    .sgpr_count:     43
    .sgpr_spill_count: 0
    .symbol:         _Z16histogram_kernelILj6ELj32ELj18ELN6hipcub23BlockHistogramAlgorithmE1EhEvPT3_S3_.kd
    .uniform_work_group_size: 1
    .uses_dynamic_stack: false
    .vgpr_count:     124
    .vgpr_spill_count: 0
    .wavefront_size: 64
  - .args:
      - .address_space:  global
        .offset:         0
        .size:           8
        .value_kind:     global_buffer
      - .address_space:  global
        .offset:         8
        .size:           8
        .value_kind:     global_buffer
    .group_segment_fixed_size: 16332
    .kernarg_segment_align: 8
    .kernarg_segment_size: 16
    .language:       OpenCL C
    .language_version:
      - 2
      - 0
    .max_flat_workgroup_size: 255
    .name:           _Z16histogram_kernelILj255ELj15ELj255ELN6hipcub23BlockHistogramAlgorithmE1EjEvPT3_S3_
    .private_segment_fixed_size: 0
    .sgpr_count:     44
    .sgpr_spill_count: 0
    .symbol:         _Z16histogram_kernelILj255ELj15ELj255ELN6hipcub23BlockHistogramAlgorithmE1EjEvPT3_S3_.kd
    .uniform_work_group_size: 1
    .uses_dynamic_stack: false
    .vgpr_count:     68
    .vgpr_spill_count: 0
    .wavefront_size: 64
  - .args:
      - .address_space:  global
        .offset:         0
        .size:           8
        .value_kind:     global_buffer
      - .address_space:  global
        .offset:         8
        .size:           8
        .value_kind:     global_buffer
    .group_segment_fixed_size: 5848
    .kernarg_segment_align: 8
    .kernarg_segment_size: 16
    .language:       OpenCL C
    .language_version:
      - 2
      - 0
    .max_flat_workgroup_size: 162
    .name:           _Z16histogram_kernelILj162ELj7ELj162ELN6hipcub23BlockHistogramAlgorithmE1EjEvPT3_S3_
    .private_segment_fixed_size: 0
    .sgpr_count:     46
    .sgpr_spill_count: 0
    .symbol:         _Z16histogram_kernelILj162ELj7ELj162ELN6hipcub23BlockHistogramAlgorithmE1EjEvPT3_S3_.kd
    .uniform_work_group_size: 1
    .uses_dynamic_stack: false
    .vgpr_count:     42
    .vgpr_spill_count: 0
    .wavefront_size: 64
  - .args:
      - .address_space:  global
        .offset:         0
        .size:           8
        .value_kind:     global_buffer
      - .address_space:  global
        .offset:         8
        .size:           8
        .value_kind:     global_buffer
    .group_segment_fixed_size: 2356
    .kernarg_segment_align: 8
    .kernarg_segment_size: 16
    .language:       OpenCL C
    .language_version:
      - 2
      - 0
    .max_flat_workgroup_size: 65
    .name:           _Z16histogram_kernelILj65ELj5ELj65ELN6hipcub23BlockHistogramAlgorithmE1EjEvPT3_S3_
    .private_segment_fixed_size: 0
    .sgpr_count:     48
    .sgpr_spill_count: 0
    .symbol:         _Z16histogram_kernelILj65ELj5ELj65ELN6hipcub23BlockHistogramAlgorithmE1EjEvPT3_S3_.kd
    .uniform_work_group_size: 1
    .uses_dynamic_stack: false
    .vgpr_count:     36
    .vgpr_spill_count: 0
    .wavefront_size: 64
  - .args:
      - .address_space:  global
        .offset:         0
        .size:           8
        .value_kind:     global_buffer
      - .address_space:  global
        .offset:         8
        .size:           8
        .value_kind:     global_buffer
    .group_segment_fixed_size: 1348
    .kernarg_segment_align: 8
    .kernarg_segment_size: 16
    .language:       OpenCL C
    .language_version:
      - 2
      - 0
    .max_flat_workgroup_size: 37
    .name:           _Z16histogram_kernelILj37ELj2ELj37ELN6hipcub23BlockHistogramAlgorithmE1EjEvPT3_S3_
    .private_segment_fixed_size: 0
    .sgpr_count:     44
    .sgpr_spill_count: 0
    .symbol:         _Z16histogram_kernelILj37ELj2ELj37ELN6hipcub23BlockHistogramAlgorithmE1EjEvPT3_S3_.kd
    .uniform_work_group_size: 1
    .uses_dynamic_stack: false
    .vgpr_count:     25
    .vgpr_spill_count: 0
    .wavefront_size: 64
  - .args:
      - .address_space:  global
        .offset:         0
        .size:           8
        .value_kind:     global_buffer
      - .address_space:  global
        .offset:         8
        .size:           8
        .value_kind:     global_buffer
      - .offset:         16
        .size:           4
        .value_kind:     hidden_block_count_x
      - .offset:         20
        .size:           4
        .value_kind:     hidden_block_count_y
      - .offset:         24
        .size:           4
        .value_kind:     hidden_block_count_z
      - .offset:         28
        .size:           2
        .value_kind:     hidden_group_size_x
      - .offset:         30
        .size:           2
        .value_kind:     hidden_group_size_y
      - .offset:         32
        .size:           2
        .value_kind:     hidden_group_size_z
      - .offset:         34
        .size:           2
        .value_kind:     hidden_remainder_x
      - .offset:         36
        .size:           2
        .value_kind:     hidden_remainder_y
      - .offset:         38
        .size:           2
        .value_kind:     hidden_remainder_z
      - .offset:         56
        .size:           8
        .value_kind:     hidden_global_offset_x
      - .offset:         64
        .size:           8
        .value_kind:     hidden_global_offset_y
      - .offset:         72
        .size:           8
        .value_kind:     hidden_global_offset_z
      - .offset:         80
        .size:           2
        .value_kind:     hidden_grid_dims
    .group_segment_fixed_size: 20544
    .kernarg_segment_align: 8
    .kernarg_segment_size: 272
    .language:       OpenCL C
    .language_version:
      - 2
      - 0
    .max_flat_workgroup_size: 1024
    .name:           _Z16histogram_kernelILj1024ELj1ELj1024ELN6hipcub23BlockHistogramAlgorithmE1EjEvPT3_S3_
    .private_segment_fixed_size: 0
    .sgpr_count:     32
    .sgpr_spill_count: 0
    .symbol:         _Z16histogram_kernelILj1024ELj1ELj1024ELN6hipcub23BlockHistogramAlgorithmE1EjEvPT3_S3_.kd
    .uniform_work_group_size: 1
    .uses_dynamic_stack: false
    .vgpr_count:     25
    .vgpr_spill_count: 0
    .wavefront_size: 64
  - .args:
      - .address_space:  global
        .offset:         0
        .size:           8
        .value_kind:     global_buffer
      - .address_space:  global
        .offset:         8
        .size:           8
        .value_kind:     global_buffer
      - .offset:         16
        .size:           4
        .value_kind:     hidden_block_count_x
      - .offset:         20
        .size:           4
        .value_kind:     hidden_block_count_y
      - .offset:         24
        .size:           4
        .value_kind:     hidden_block_count_z
      - .offset:         28
        .size:           2
        .value_kind:     hidden_group_size_x
      - .offset:         30
        .size:           2
        .value_kind:     hidden_group_size_y
      - .offset:         32
        .size:           2
        .value_kind:     hidden_group_size_z
      - .offset:         34
        .size:           2
        .value_kind:     hidden_remainder_x
      - .offset:         36
        .size:           2
        .value_kind:     hidden_remainder_y
      - .offset:         38
        .size:           2
        .value_kind:     hidden_remainder_z
      - .offset:         56
        .size:           8
        .value_kind:     hidden_global_offset_x
      - .offset:         64
        .size:           8
        .value_kind:     hidden_global_offset_y
      - .offset:         72
        .size:           8
        .value_kind:     hidden_global_offset_z
      - .offset:         80
        .size:           2
        .value_kind:     hidden_grid_dims
    .group_segment_fixed_size: 10272
    .kernarg_segment_align: 8
    .kernarg_segment_size: 272
    .language:       OpenCL C
    .language_version:
      - 2
      - 0
    .max_flat_workgroup_size: 512
    .name:           _Z16histogram_kernelILj512ELj4ELj512ELN6hipcub23BlockHistogramAlgorithmE1EjEvPT3_S3_
    .private_segment_fixed_size: 0
    .sgpr_count:     46
    .sgpr_spill_count: 0
    .symbol:         _Z16histogram_kernelILj512ELj4ELj512ELN6hipcub23BlockHistogramAlgorithmE1EjEvPT3_S3_.kd
    .uniform_work_group_size: 1
    .uses_dynamic_stack: false
    .vgpr_count:     37
    .vgpr_spill_count: 0
    .wavefront_size: 64
  - .args:
      - .address_space:  global
        .offset:         0
        .size:           8
        .value_kind:     global_buffer
      - .address_space:  global
        .offset:         8
        .size:           8
        .value_kind:     global_buffer
      - .offset:         16
        .size:           4
        .value_kind:     hidden_block_count_x
      - .offset:         20
        .size:           4
        .value_kind:     hidden_block_count_y
      - .offset:         24
        .size:           4
        .value_kind:     hidden_block_count_z
      - .offset:         28
        .size:           2
        .value_kind:     hidden_group_size_x
      - .offset:         30
        .size:           2
        .value_kind:     hidden_group_size_y
      - .offset:         32
        .size:           2
        .value_kind:     hidden_group_size_z
      - .offset:         34
        .size:           2
        .value_kind:     hidden_remainder_x
      - .offset:         36
        .size:           2
        .value_kind:     hidden_remainder_y
      - .offset:         38
        .size:           2
        .value_kind:     hidden_remainder_z
      - .offset:         56
        .size:           8
        .value_kind:     hidden_global_offset_x
      - .offset:         64
        .size:           8
        .value_kind:     hidden_global_offset_y
      - .offset:         72
        .size:           8
        .value_kind:     hidden_global_offset_z
      - .offset:         80
        .size:           2
        .value_kind:     hidden_grid_dims
    .group_segment_fixed_size: 8192
    .kernarg_segment_align: 8
    .kernarg_segment_size: 272
    .language:       OpenCL C
    .language_version:
      - 2
      - 0
    .max_flat_workgroup_size: 256
    .name:           _Z16histogram_kernelILj256ELj3ELj512ELN6hipcub23BlockHistogramAlgorithmE1EjEvPT3_S3_
    .private_segment_fixed_size: 0
    .sgpr_count:     46
    .sgpr_spill_count: 0
    .symbol:         _Z16histogram_kernelILj256ELj3ELj512ELN6hipcub23BlockHistogramAlgorithmE1EjEvPT3_S3_.kd
    .uniform_work_group_size: 1
    .uses_dynamic_stack: false
    .vgpr_count:     33
    .vgpr_spill_count: 0
    .wavefront_size: 64
  - .args:
      - .address_space:  global
        .offset:         0
        .size:           8
        .value_kind:     global_buffer
      - .address_space:  global
        .offset:         8
        .size:           8
        .value_kind:     global_buffer
    .group_segment_fixed_size: 1296
    .kernarg_segment_align: 8
    .kernarg_segment_size: 16
    .language:       OpenCL C
    .language_version:
      - 2
      - 0
    .max_flat_workgroup_size: 32
    .name:           _Z16histogram_kernelILj32ELj2ELj64ELN6hipcub23BlockHistogramAlgorithmE1EjEvPT3_S3_
    .private_segment_fixed_size: 0
    .sgpr_count:     41
    .sgpr_spill_count: 0
    .symbol:         _Z16histogram_kernelILj32ELj2ELj64ELN6hipcub23BlockHistogramAlgorithmE1EjEvPT3_S3_.kd
    .uniform_work_group_size: 1
    .uses_dynamic_stack: false
    .vgpr_count:     25
    .vgpr_spill_count: 0
    .wavefront_size: 64
  - .args:
      - .address_space:  global
        .offset:         0
        .size:           8
        .value_kind:     global_buffer
      - .address_space:  global
        .offset:         8
        .size:           8
        .value_kind:     global_buffer
    .group_segment_fixed_size: 840
    .kernarg_segment_align: 8
    .kernarg_segment_size: 16
    .language:       OpenCL C
    .language_version:
      - 2
      - 0
    .max_flat_workgroup_size: 6
    .name:           _Z16histogram_kernelILj6ELj32ELj18ELN6hipcub23BlockHistogramAlgorithmE1EjEvPT3_S3_
    .private_segment_fixed_size: 0
    .sgpr_count:     36
    .sgpr_spill_count: 0
    .symbol:         _Z16histogram_kernelILj6ELj32ELj18ELN6hipcub23BlockHistogramAlgorithmE1EjEvPT3_S3_.kd
    .uniform_work_group_size: 1
    .uses_dynamic_stack: false
    .vgpr_count:     122
    .vgpr_spill_count: 0
    .wavefront_size: 64
  - .args:
      - .address_space:  global
        .offset:         0
        .size:           8
        .value_kind:     global_buffer
      - .address_space:  global
        .offset:         8
        .size:           8
        .value_kind:     global_buffer
    .group_segment_fixed_size: 1020
    .kernarg_segment_align: 8
    .kernarg_segment_size: 16
    .language:       OpenCL C
    .language_version:
      - 2
      - 0
    .max_flat_workgroup_size: 255
    .name:           _Z16histogram_kernelILj255ELj15ELj255ELN6hipcub23BlockHistogramAlgorithmE0EjEvPT3_S3_
    .private_segment_fixed_size: 0
    .sgpr_count:     11
    .sgpr_spill_count: 0
    .symbol:         _Z16histogram_kernelILj255ELj15ELj255ELN6hipcub23BlockHistogramAlgorithmE0EjEvPT3_S3_.kd
    .uniform_work_group_size: 1
    .uses_dynamic_stack: false
    .vgpr_count:     22
    .vgpr_spill_count: 0
    .wavefront_size: 64
  - .args:
      - .address_space:  global
        .offset:         0
        .size:           8
        .value_kind:     global_buffer
      - .address_space:  global
        .offset:         8
        .size:           8
        .value_kind:     global_buffer
    .group_segment_fixed_size: 648
    .kernarg_segment_align: 8
    .kernarg_segment_size: 16
    .language:       OpenCL C
    .language_version:
      - 2
      - 0
    .max_flat_workgroup_size: 162
    .name:           _Z16histogram_kernelILj162ELj7ELj162ELN6hipcub23BlockHistogramAlgorithmE0EjEvPT3_S3_
    .private_segment_fixed_size: 0
    .sgpr_count:     11
    .sgpr_spill_count: 0
    .symbol:         _Z16histogram_kernelILj162ELj7ELj162ELN6hipcub23BlockHistogramAlgorithmE0EjEvPT3_S3_.kd
    .uniform_work_group_size: 1
    .uses_dynamic_stack: false
    .vgpr_count:     25
    .vgpr_spill_count: 0
    .wavefront_size: 64
  - .args:
      - .address_space:  global
        .offset:         0
        .size:           8
        .value_kind:     global_buffer
      - .address_space:  global
        .offset:         8
        .size:           8
        .value_kind:     global_buffer
    .group_segment_fixed_size: 260
    .kernarg_segment_align: 8
    .kernarg_segment_size: 16
    .language:       OpenCL C
    .language_version:
      - 2
      - 0
    .max_flat_workgroup_size: 65
    .name:           _Z16histogram_kernelILj65ELj5ELj65ELN6hipcub23BlockHistogramAlgorithmE0EjEvPT3_S3_
    .private_segment_fixed_size: 0
    .sgpr_count:     11
    .sgpr_spill_count: 0
    .symbol:         _Z16histogram_kernelILj65ELj5ELj65ELN6hipcub23BlockHistogramAlgorithmE0EjEvPT3_S3_.kd
    .uniform_work_group_size: 1
    .uses_dynamic_stack: false
    .vgpr_count:     19
    .vgpr_spill_count: 0
    .wavefront_size: 64
  - .args:
      - .address_space:  global
        .offset:         0
        .size:           8
        .value_kind:     global_buffer
      - .address_space:  global
        .offset:         8
        .size:           8
        .value_kind:     global_buffer
    .group_segment_fixed_size: 148
    .kernarg_segment_align: 8
    .kernarg_segment_size: 16
    .language:       OpenCL C
    .language_version:
      - 2
      - 0
    .max_flat_workgroup_size: 37
    .name:           _Z16histogram_kernelILj37ELj2ELj37ELN6hipcub23BlockHistogramAlgorithmE0EjEvPT3_S3_
    .private_segment_fixed_size: 0
    .sgpr_count:     11
    .sgpr_spill_count: 0
    .symbol:         _Z16histogram_kernelILj37ELj2ELj37ELN6hipcub23BlockHistogramAlgorithmE0EjEvPT3_S3_.kd
    .uniform_work_group_size: 1
    .uses_dynamic_stack: false
    .vgpr_count:     9
    .vgpr_spill_count: 0
    .wavefront_size: 64
  - .args:
      - .address_space:  global
        .offset:         0
        .size:           8
        .value_kind:     global_buffer
      - .address_space:  global
        .offset:         8
        .size:           8
        .value_kind:     global_buffer
    .group_segment_fixed_size: 4096
    .kernarg_segment_align: 8
    .kernarg_segment_size: 16
    .language:       OpenCL C
    .language_version:
      - 2
      - 0
    .max_flat_workgroup_size: 1024
    .name:           _Z16histogram_kernelILj1024ELj1ELj1024ELN6hipcub23BlockHistogramAlgorithmE0EjEvPT3_S3_
    .private_segment_fixed_size: 0
    .sgpr_count:     24
    .sgpr_spill_count: 0
    .symbol:         _Z16histogram_kernelILj1024ELj1ELj1024ELN6hipcub23BlockHistogramAlgorithmE0EjEvPT3_S3_.kd
    .uniform_work_group_size: 1
    .uses_dynamic_stack: false
    .vgpr_count:     24
    .vgpr_spill_count: 0
    .wavefront_size: 64
  - .args:
      - .address_space:  global
        .offset:         0
        .size:           8
        .value_kind:     global_buffer
      - .address_space:  global
        .offset:         8
        .size:           8
        .value_kind:     global_buffer
    .group_segment_fixed_size: 2048
    .kernarg_segment_align: 8
    .kernarg_segment_size: 16
    .language:       OpenCL C
    .language_version:
      - 2
      - 0
    .max_flat_workgroup_size: 512
    .name:           _Z16histogram_kernelILj512ELj4ELj512ELN6hipcub23BlockHistogramAlgorithmE0EjEvPT3_S3_
    .private_segment_fixed_size: 0
    .sgpr_count:     11
    .sgpr_spill_count: 0
    .symbol:         _Z16histogram_kernelILj512ELj4ELj512ELN6hipcub23BlockHistogramAlgorithmE0EjEvPT3_S3_.kd
    .uniform_work_group_size: 1
    .uses_dynamic_stack: false
    .vgpr_count:     11
    .vgpr_spill_count: 0
    .wavefront_size: 64
  - .args:
      - .address_space:  global
        .offset:         0
        .size:           8
        .value_kind:     global_buffer
      - .address_space:  global
        .offset:         8
        .size:           8
        .value_kind:     global_buffer
    .group_segment_fixed_size: 2048
    .kernarg_segment_align: 8
    .kernarg_segment_size: 16
    .language:       OpenCL C
    .language_version:
      - 2
      - 0
    .max_flat_workgroup_size: 256
    .name:           _Z16histogram_kernelILj256ELj3ELj512ELN6hipcub23BlockHistogramAlgorithmE0EjEvPT3_S3_
    .private_segment_fixed_size: 0
    .sgpr_count:     16
    .sgpr_spill_count: 0
    .symbol:         _Z16histogram_kernelILj256ELj3ELj512ELN6hipcub23BlockHistogramAlgorithmE0EjEvPT3_S3_.kd
    .uniform_work_group_size: 1
    .uses_dynamic_stack: false
    .vgpr_count:     13
    .vgpr_spill_count: 0
    .wavefront_size: 64
  - .args:
      - .address_space:  global
        .offset:         0
        .size:           8
        .value_kind:     global_buffer
      - .address_space:  global
        .offset:         8
        .size:           8
        .value_kind:     global_buffer
    .group_segment_fixed_size: 256
    .kernarg_segment_align: 8
    .kernarg_segment_size: 16
    .language:       OpenCL C
    .language_version:
      - 2
      - 0
    .max_flat_workgroup_size: 32
    .name:           _Z16histogram_kernelILj32ELj2ELj64ELN6hipcub23BlockHistogramAlgorithmE0EjEvPT3_S3_
    .private_segment_fixed_size: 0
    .sgpr_count:     16
    .sgpr_spill_count: 0
    .symbol:         _Z16histogram_kernelILj32ELj2ELj64ELN6hipcub23BlockHistogramAlgorithmE0EjEvPT3_S3_.kd
    .uniform_work_group_size: 1
    .uses_dynamic_stack: false
    .vgpr_count:     10
    .vgpr_spill_count: 0
    .wavefront_size: 64
  - .args:
      - .address_space:  global
        .offset:         0
        .size:           8
        .value_kind:     global_buffer
      - .address_space:  global
        .offset:         8
        .size:           8
        .value_kind:     global_buffer
    .group_segment_fixed_size: 72
    .kernarg_segment_align: 8
    .kernarg_segment_size: 16
    .language:       OpenCL C
    .language_version:
      - 2
      - 0
    .max_flat_workgroup_size: 6
    .name:           _Z16histogram_kernelILj6ELj32ELj18ELN6hipcub23BlockHistogramAlgorithmE0EjEvPT3_S3_
    .private_segment_fixed_size: 0
    .sgpr_count:     16
    .sgpr_spill_count: 0
    .symbol:         _Z16histogram_kernelILj6ELj32ELj18ELN6hipcub23BlockHistogramAlgorithmE0EjEvPT3_S3_.kd
    .uniform_work_group_size: 1
    .uses_dynamic_stack: false
    .vgpr_count:     40
    .vgpr_spill_count: 0
    .wavefront_size: 64
amdhsa.target:   amdgcn-amd-amdhsa--gfx906
amdhsa.version:
  - 1
  - 2
...

	.end_amdgpu_metadata
